;; amdgpu-corpus repo=ROCm/rocFFT kind=compiled arch=gfx950 opt=O3
	.text
	.amdgcn_target "amdgcn-amd-amdhsa--gfx950"
	.amdhsa_code_object_version 6
	.protected	bluestein_single_fwd_len3000_dim1_sp_op_CI_CI ; -- Begin function bluestein_single_fwd_len3000_dim1_sp_op_CI_CI
	.globl	bluestein_single_fwd_len3000_dim1_sp_op_CI_CI
	.p2align	8
	.type	bluestein_single_fwd_len3000_dim1_sp_op_CI_CI,@function
bluestein_single_fwd_len3000_dim1_sp_op_CI_CI: ; @bluestein_single_fwd_len3000_dim1_sp_op_CI_CI
; %bb.0:
	s_load_dwordx4 s[12:15], s[0:1], 0x28
	v_mul_u32_u24_e32 v1, 0x290, v0
	v_add_u32_sdwa v250, s2, v1 dst_sel:DWORD dst_unused:UNUSED_PAD src0_sel:DWORD src1_sel:WORD_1
	v_mov_b32_e32 v251, 0
	s_waitcnt lgkmcnt(0)
	v_cmp_gt_u64_e32 vcc, s[12:13], v[250:251]
	s_and_saveexec_b64 s[2:3], vcc
	s_cbranch_execz .LBB0_2
; %bb.1:
	s_load_dwordx4 s[4:7], s[0:1], 0x0
	s_load_dwordx4 s[8:11], s[0:1], 0x18
	s_load_dwordx2 s[2:3], s[0:1], 0x38
	s_movk_i32 s0, 0x64
	v_mul_lo_u16_sdwa v1, v1, s0 dst_sel:DWORD dst_unused:UNUSED_PAD src0_sel:WORD_1 src1_sel:DWORD
	s_mov_b32 s0, 0
	v_mov_b32_e32 v229, s0
	s_waitcnt lgkmcnt(0)
	v_mov_b32_e32 v4, s2
	v_mov_b32_e32 v5, s3
	s_load_dwordx4 s[0:3], s[10:11], 0x0
	v_accvgpr_write_b32 a4, v4
	v_accvgpr_write_b32 a5, v5
	v_sub_u16_e32 v228, v0, v1
	v_mov_b32_e32 v2, s14
	s_waitcnt lgkmcnt(0)
	v_mad_u64_u32 v[4:5], s[10:11], s2, v250, 0
	s_load_dwordx4 s[8:11], s[8:9], 0x0
	v_mov_b32_e32 v0, v5
	v_mad_u64_u32 v[0:1], s[2:3], s3, v250, v[0:1]
	v_mov_b32_e32 v5, v0
	v_accvgpr_write_b32 a9, v5
	s_waitcnt lgkmcnt(0)
	v_mad_u64_u32 v[0:1], s[2:3], s10, v250, 0
	v_accvgpr_write_b32 a8, v4
	v_mov_b32_e32 v4, v1
	v_mad_u64_u32 v[4:5], s[2:3], s11, v250, v[4:5]
	v_mov_b32_e32 v1, v4
	v_mad_u64_u32 v[4:5], s[2:3], s8, v228, 0
	v_mov_b32_e32 v6, v5
	v_mov_b32_e32 v3, s15
	v_mad_u64_u32 v[6:7], s[2:3], s9, v228, v[6:7]
	v_mov_b32_e32 v5, v6
	v_lshl_add_u64 v[0:1], v[0:1], 3, v[2:3]
	v_lshl_add_u64 v[2:3], v[4:5], 3, v[0:1]
	v_lshlrev_b32_e32 v250, 3, v228
	global_load_dwordx2 v[4:5], v[2:3], off
	global_load_dwordx2 v[6:7], v250, s[4:5]
	s_mov_b64 s[2:3], 0x12c
	v_mov_b32_e32 v124, 0x960
	v_lshl_add_u64 v[76:77], v[228:229], 0, s[2:3]
	v_mad_u64_u32 v[2:3], s[2:3], s8, v124, v[2:3]
	s_mul_i32 s2, s9, 0x960
	s_nop 0
	v_add_u32_e32 v3, s2, v3
	v_lshl_add_u64 v[188:189], s[4:5], 0, v[250:251]
	s_mov_b64 s[10:11], 0x258
	s_movk_i32 s3, 0x1000
	v_lshl_add_u64 v[78:79], v[228:229], 0, s[10:11]
	v_mov_b32_e32 v30, 0xffffaec0
	s_mov_b32 s14, 0xbf167918
	s_mov_b32 s16, 0xbf737871
	;; [unrolled: 1-line block ×3, first 2 shown]
	s_waitcnt vmcnt(0)
	v_accvgpr_write_b32 a35, v7
	v_mul_f32_e32 v0, v5, v7
	v_mul_f32_e32 v1, v4, v7
	v_fmac_f32_e32 v0, v4, v6
	v_fma_f32 v1, v5, v6, -v1
	global_load_dwordx2 v[4:5], v[2:3], off
	global_load_dwordx2 v[8:9], v250, s[4:5] offset:2400
	v_accvgpr_write_b32 a34, v6
	v_mad_u64_u32 v[2:3], s[10:11], s8, v124, v[2:3]
	v_add_u32_e32 v3, s2, v3
	s_mov_b64 s[10:11], 0x384
	v_lshl_add_u64 v[80:81], v[228:229], 0, s[10:11]
	s_waitcnt vmcnt(0)
	v_mul_f32_e32 v6, v5, v9
	v_fmac_f32_e32 v6, v4, v8
	v_mul_f32_e32 v4, v4, v9
	v_fma_f32 v7, v5, v8, -v4
	ds_write_b64 v250, v[6:7] offset:2400
	v_add_co_u32_e32 v6, vcc, s3, v188
	global_load_dwordx2 v[4:5], v[2:3], off
	s_nop 0
	v_addc_co_u32_e32 v7, vcc, 0, v189, vcc
	global_load_dwordx2 v[10:11], v[6:7], off offset:704
	v_accvgpr_write_b32 a25, v9
	v_accvgpr_write_b32 a24, v8
	v_mad_u64_u32 v[2:3], s[10:11], s8, v124, v[2:3]
	v_add_u32_e32 v3, s2, v3
	s_movk_i32 s3, 0x2000
	s_waitcnt vmcnt(0)
	v_mul_f32_e32 v8, v5, v11
	v_fmac_f32_e32 v8, v4, v10
	v_mul_f32_e32 v4, v4, v11
	v_fma_f32 v9, v5, v10, -v4
	v_accvgpr_write_b32 a31, v11
	ds_write_b64 v250, v[8:9] offset:4800
	v_accvgpr_write_b32 a30, v10
	global_load_dwordx2 v[4:5], v[2:3], off
	global_load_dwordx2 v[10:11], v[6:7], off offset:3104
	v_mad_u64_u32 v[2:3], s[10:11], s8, v124, v[2:3]
	v_add_u32_e32 v3, s2, v3
	s_waitcnt vmcnt(0)
	v_mul_f32_e32 v8, v5, v11
	v_fmac_f32_e32 v8, v4, v10
	v_mul_f32_e32 v4, v4, v11
	v_fma_f32 v9, v5, v10, -v4
	ds_write_b64 v250, v[8:9] offset:7200
	v_add_co_u32_e32 v8, vcc, s3, v188
	global_load_dwordx2 v[4:5], v[2:3], off
	s_nop 0
	v_addc_co_u32_e32 v9, vcc, 0, v189, vcc
	global_load_dwordx2 v[12:13], v[8:9], off offset:1408
	v_accvgpr_write_b32 a17, v11
	v_accvgpr_write_b32 a16, v10
	v_mad_u64_u32 v[2:3], s[10:11], s8, v124, v[2:3]
	v_add_u32_e32 v3, s2, v3
	s_movk_i32 s3, 0x3000
	s_waitcnt vmcnt(0)
	v_mul_f32_e32 v10, v5, v13
	v_fmac_f32_e32 v10, v4, v12
	v_mul_f32_e32 v4, v4, v13
	v_fma_f32 v11, v5, v12, -v4
	v_accvgpr_write_b32 a33, v13
	ds_write_b64 v250, v[10:11] offset:9600
	v_accvgpr_write_b32 a32, v12
	global_load_dwordx2 v[4:5], v[2:3], off
	global_load_dwordx2 v[12:13], v[8:9], off offset:3808
	v_mad_u64_u32 v[2:3], s[10:11], s8, v124, v[2:3]
	v_add_u32_e32 v3, s2, v3
	s_waitcnt vmcnt(0)
	v_mul_f32_e32 v10, v5, v13
	v_fmac_f32_e32 v10, v4, v12
	v_mul_f32_e32 v4, v4, v13
	v_fma_f32 v11, v5, v12, -v4
	v_add_co_u32_e32 v4, vcc, s3, v188
	ds_write_b64 v250, v[10:11] offset:12000
	s_nop 0
	v_addc_co_u32_e32 v5, vcc, 0, v189, vcc
	global_load_dwordx2 v[10:11], v[2:3], off
	global_load_dwordx2 v[14:15], v[4:5], off offset:2112
	v_accvgpr_write_b32 a19, v13
	v_accvgpr_write_b32 a18, v12
	s_movk_i32 s3, 0x4000
	s_waitcnt vmcnt(0)
	v_mul_f32_e32 v12, v11, v15
	v_fmac_f32_e32 v12, v10, v14
	v_mul_f32_e32 v10, v10, v15
	v_fma_f32 v13, v11, v14, -v10
	v_mad_u64_u32 v[10:11], s[10:11], s8, v124, v[2:3]
	v_add_co_u32_e32 v2, vcc, s3, v188
	v_add_u32_e32 v11, s2, v11
	s_nop 0
	v_addc_co_u32_e32 v3, vcc, 0, v189, vcc
	ds_write_b64 v250, v[12:13] offset:14400
	global_load_dwordx2 v[12:13], v[10:11], off
	global_load_dwordx2 v[16:17], v[2:3], off offset:416
	v_accvgpr_write_b32 a29, v15
	v_accvgpr_write_b32 a28, v14
	v_mad_u64_u32 v[10:11], s[10:11], s8, v124, v[10:11]
	v_add_u32_e32 v11, s2, v11
	s_movk_i32 s3, 0x5000
	v_add_co_u32_e32 v190, vcc, s3, v188
	s_mul_i32 s3, s9, 0xffffaec0
	s_nop 0
	v_addc_co_u32_e32 v191, vcc, 0, v189, vcc
	s_sub_i32 s3, s3, s8
	s_waitcnt vmcnt(0)
	v_mul_f32_e32 v14, v13, v17
	v_fmac_f32_e32 v14, v12, v16
	v_mul_f32_e32 v12, v12, v17
	v_fma_f32 v15, v13, v16, -v12
	v_accvgpr_write_b32 a37, v17
	ds_write_b64 v250, v[14:15] offset:16800
	v_accvgpr_write_b32 a36, v16
	global_load_dwordx2 v[12:13], v[10:11], off
	global_load_dwordx2 v[16:17], v[2:3], off offset:2816
	v_mad_u64_u32 v[10:11], s[10:11], s8, v124, v[10:11]
	v_add_u32_e32 v11, s2, v11
	s_mov_b64 s[10:11], 0x64
	v_lshl_add_u64 v[74:75], v[228:229], 0, s[10:11]
	s_waitcnt vmcnt(0)
	v_mul_f32_e32 v14, v13, v17
	v_fmac_f32_e32 v14, v12, v16
	v_mul_f32_e32 v12, v12, v17
	v_accvgpr_write_b32 a23, v17
	v_fma_f32 v15, v13, v16, -v12
	v_accvgpr_write_b32 a22, v16
	global_load_dwordx2 v[12:13], v[10:11], off
	global_load_dwordx2 v[16:17], v[190:191], off offset:1120
	ds_write_b64 v250, v[14:15] offset:19200
	s_waitcnt vmcnt(0)
	v_mul_f32_e32 v14, v13, v17
	v_fmac_f32_e32 v14, v12, v16
	v_mul_f32_e32 v12, v12, v17
	v_fma_f32 v15, v13, v16, -v12
	v_mov_b32_e32 v12, 0xffffaec0
	v_mad_u64_u32 v[10:11], s[10:11], s8, v12, v[10:11]
	v_accvgpr_write_b32 a14, v16
	ds_write_b64 v250, v[14:15] offset:21600
	v_add_u32_e32 v11, s3, v11
	v_accvgpr_write_b32 a15, v17
	global_load_dwordx2 v[12:13], v[10:11], off
	global_load_dwordx2 v[16:17], v250, s[4:5] offset:800
	s_mov_b64 s[10:11], 0x190
	v_lshl_add_u64 v[84:85], v[228:229], 0, s[10:11]
	s_waitcnt vmcnt(0)
	v_mul_f32_e32 v14, v13, v17
	v_fmac_f32_e32 v14, v12, v16
	v_mul_f32_e32 v12, v12, v17
	v_fma_f32 v15, v13, v16, -v12
	ds_write2_b64 v250, v[0:1], v[14:15] offset1:100
	v_mad_u64_u32 v[0:1], s[10:11], s8, v124, v[10:11]
	v_add_u32_e32 v1, s2, v1
	global_load_dwordx2 v[10:11], v[0:1], off
	global_load_dwordx2 v[12:13], v250, s[4:5] offset:3200
	s_mov_b64 s[10:11], 0x2bc
	v_lshl_add_u64 v[82:83], v[228:229], 0, s[10:11]
	v_mad_u64_u32 v[0:1], s[10:11], s8, v124, v[0:1]
	v_add_u32_e32 v1, s2, v1
	v_accvgpr_write_b32 a43, v17
	v_accvgpr_write_b32 a42, v16
	s_waitcnt vmcnt(0)
	v_mul_f32_e32 v24, v11, v13
	v_fmac_f32_e32 v24, v10, v12
	v_mul_f32_e32 v10, v10, v13
	v_accvgpr_write_b32 a41, v13
	v_fma_f32 v25, v11, v12, -v10
	v_accvgpr_write_b32 a40, v12
	global_load_dwordx2 v[10:11], v[0:1], off
	global_load_dwordx2 v[12:13], v[6:7], off offset:1504
	v_mad_u64_u32 v[0:1], s[10:11], s8, v124, v[0:1]
	v_add_u32_e32 v1, s2, v1
	s_waitcnt vmcnt(0)
	v_mul_f32_e32 v22, v11, v13
	v_fmac_f32_e32 v22, v10, v12
	v_mul_f32_e32 v10, v10, v13
	v_accvgpr_write_b32 a39, v13
	v_fma_f32 v23, v11, v12, -v10
	v_accvgpr_write_b32 a38, v12
	global_load_dwordx2 v[10:11], v[0:1], off
	global_load_dwordx2 v[12:13], v[6:7], off offset:3904
	v_mad_u64_u32 v[0:1], s[10:11], s8, v124, v[0:1]
	v_add_u32_e32 v1, s2, v1
	;; [unrolled: 11-line block ×5, first 2 shown]
	s_waitcnt vmcnt(0)
	v_mul_f32_e32 v14, v11, v13
	v_fmac_f32_e32 v14, v10, v12
	v_mul_f32_e32 v10, v10, v13
	v_fma_f32 v15, v11, v12, -v10
	global_load_dwordx2 v[10:11], v[0:1], off
	global_load_dwordx2 v[26:27], v[2:3], off offset:1216
	v_accvgpr_write_b32 a10, v12
	v_accvgpr_write_b32 a11, v13
	v_mad_u64_u32 v[0:1], s[10:11], s8, v124, v[0:1]
	v_add_u32_e32 v1, s2, v1
	s_waitcnt vmcnt(0)
	v_mul_f32_e32 v12, v11, v27
	v_fmac_f32_e32 v12, v10, v26
	v_mul_f32_e32 v10, v10, v27
	v_accvgpr_write_b32 a6, v26
	v_fma_f32 v13, v11, v26, -v10
	v_accvgpr_write_b32 a7, v27
	global_load_dwordx2 v[26:27], v[0:1], off
	global_load_dwordx2 v[28:29], v[2:3], off offset:3616
	s_waitcnt vmcnt(0)
	v_mul_f32_e32 v10, v27, v29
	v_mul_f32_e32 v11, v26, v29
	v_fmac_f32_e32 v10, v26, v28
	v_fma_f32 v11, v27, v28, -v11
	v_mad_u64_u32 v[26:27], s[10:11], s8, v124, v[0:1]
	v_accvgpr_write_b32 a2, v28
	v_add_u32_e32 v27, s2, v27
	v_accvgpr_write_b32 a3, v29
	global_load_dwordx2 v[28:29], v[26:27], off
	global_load_dwordx2 v[32:33], v[190:191], off offset:1920
	s_mov_b64 s[10:11], 0xc8
	v_lshl_add_u64 v[120:121], v[228:229], 0, s[10:11]
	v_mad_u64_u32 v[26:27], s[10:11], s8, v30, v[26:27]
	v_add_u32_e32 v27, s3, v27
	s_mov_b64 s[10:11], 0x1f4
	v_lshl_add_u64 v[88:89], v[228:229], 0, s[10:11]
	s_waitcnt vmcnt(0)
	v_mul_f32_e32 v0, v29, v33
	v_mul_f32_e32 v1, v28, v33
	v_accvgpr_write_b32 a0, v32
	v_fmac_f32_e32 v0, v28, v32
	v_fma_f32 v1, v29, v32, -v1
	v_accvgpr_write_b32 a1, v33
	global_load_dwordx2 v[28:29], v[26:27], off
	global_load_dwordx2 v[32:33], v250, s[4:5] offset:1600
	v_mad_u64_u32 v[26:27], s[10:11], s8, v124, v[26:27]
	v_add_u32_e32 v27, s2, v27
	s_mov_b32 s10, 0x3f4f1bbd
	s_waitcnt vmcnt(0)
	v_mul_f32_e32 v30, v29, v33
	v_fmac_f32_e32 v30, v28, v32
	v_mul_f32_e32 v28, v28, v33
	v_fma_f32 v31, v29, v32, -v28
	v_accvgpr_write_b32 a47, v33
	ds_write_b64 v250, v[30:31] offset:1600
	v_accvgpr_write_b32 a46, v32
	global_load_dwordx2 v[28:29], v[26:27], off
	global_load_dwordx2 v[32:33], v250, s[4:5] offset:4000
	s_mov_b64 s[4:5], 0x320
	v_lshl_add_u64 v[86:87], v[228:229], 0, s[4:5]
	v_add_u32_e32 v229, 0x4000, v250
	s_waitcnt vmcnt(0)
	v_mul_f32_e32 v30, v29, v33
	v_fmac_f32_e32 v30, v28, v32
	v_mul_f32_e32 v28, v28, v33
	v_fma_f32 v31, v29, v32, -v28
	v_add_u32_e32 v28, 0x800, v250
	ds_write2_b64 v28, v[24:25], v[30:31] offset0:144 offset1:244
	v_mad_u64_u32 v[24:25], s[4:5], s8, v124, v[26:27]
	v_add_u32_e32 v25, s2, v25
	v_mov_b32_e32 v85, v28
	global_load_dwordx2 v[26:27], v[24:25], off
	global_load_dwordx2 v[28:29], v[6:7], off offset:2304
	v_accvgpr_write_b32 a45, v33
	v_accvgpr_write_b32 a44, v32
	s_waitcnt vmcnt(0)
	v_mul_f32_e32 v6, v27, v29
	v_mul_f32_e32 v7, v26, v29
	v_fmac_f32_e32 v6, v26, v28
	v_fma_f32 v7, v27, v28, -v7
	v_add_u32_e32 v26, 0x1400, v250
	ds_write2_b64 v26, v[22:23], v[6:7] offset0:60 offset1:160
	v_mad_u64_u32 v[6:7], s[4:5], s8, v124, v[24:25]
	v_add_u32_e32 v7, s2, v7
	v_accvgpr_write_b32 a64, v26
	global_load_dwordx2 v[22:23], v[6:7], off
	global_load_dwordx2 v[26:27], v[8:9], off offset:608
	v_mad_u64_u32 v[6:7], s[4:5], s8, v124, v[6:7]
	v_add_u32_e32 v7, s2, v7
	v_accvgpr_write_b32 a49, v29
	v_accvgpr_write_b32 a48, v28
	s_waitcnt vmcnt(0)
	v_mul_f32_e32 v24, v23, v27
	v_fmac_f32_e32 v24, v22, v26
	v_mul_f32_e32 v22, v22, v27
	v_fma_f32 v25, v23, v26, -v22
	v_add_u32_e32 v22, 0x1c00, v250
	ds_write2_b64 v22, v[20:21], v[24:25] offset0:104 offset1:204
	v_mov_b32_e32 v119, v22
	global_load_dwordx2 v[20:21], v[6:7], off
	global_load_dwordx2 v[22:23], v[8:9], off offset:3008
	v_mad_u64_u32 v[6:7], s[4:5], s8, v124, v[6:7]
	v_add_u32_e32 v7, s2, v7
	v_accvgpr_write_b32 a53, v27
	v_accvgpr_write_b32 a52, v26
	s_waitcnt vmcnt(0)
	v_mul_f32_e32 v8, v21, v23
	v_mul_f32_e32 v9, v20, v23
	v_fmac_f32_e32 v8, v20, v22
	v_fma_f32 v9, v21, v22, -v9
	v_add_u32_e32 v20, 0x2800, v250
	ds_write2_b64 v20, v[18:19], v[8:9] offset0:20 offset1:120
	v_mov_b32_e32 v83, v20
	global_load_dwordx2 v[8:9], v[6:7], off
	global_load_dwordx2 v[20:21], v[4:5], off offset:1312
	v_mad_u64_u32 v[6:7], s[4:5], s8, v124, v[6:7]
	v_add_u32_e32 v7, s2, v7
	v_accvgpr_write_b32 a51, v23
	v_accvgpr_write_b32 a50, v22
	s_waitcnt vmcnt(0)
	v_mul_f32_e32 v18, v9, v21
	v_fmac_f32_e32 v18, v8, v20
	v_mul_f32_e32 v8, v8, v21
	v_fma_f32 v19, v9, v20, -v8
	v_add_u32_e32 v8, 0x3000, v250
	ds_write2_b64 v8, v[16:17], v[18:19] offset0:64 offset1:164
	v_mov_b32_e32 v18, v8
	global_load_dwordx2 v[8:9], v[6:7], off
	global_load_dwordx2 v[16:17], v[4:5], off offset:3712
	v_accvgpr_write_b32 a55, v21
	v_accvgpr_write_b32 a54, v20
	v_mov_b32_e32 v89, v18
	v_mov_b32_e32 v151, v89
	s_waitcnt vmcnt(0)
	v_mul_f32_e32 v4, v9, v17
	v_mul_f32_e32 v5, v8, v17
	v_fmac_f32_e32 v4, v8, v16
	v_fma_f32 v5, v9, v16, -v5
	v_add_u32_e32 v8, 0x3800, v250
	ds_write2_b64 v8, v[14:15], v[4:5] offset0:108 offset1:208
	v_mad_u64_u32 v[4:5], s[4:5], s8, v124, v[6:7]
	v_add_u32_e32 v5, s2, v5
	v_mov_b32_e32 v14, v8
	global_load_dwordx2 v[6:7], v[4:5], off
	global_load_dwordx2 v[8:9], v[2:3], off offset:2016
	v_accvgpr_write_b32 a57, v17
	v_accvgpr_write_b32 a56, v16
	v_add_u32_e32 v16, 0x4800, v250
	v_mov_b32_e32 v177, v14
	v_mov_b32_e32 v81, v16
	s_waitcnt vmcnt(0)
	v_mul_f32_e32 v2, v7, v9
	v_mul_f32_e32 v3, v6, v9
	v_fmac_f32_e32 v2, v6, v8
	v_fma_f32 v3, v7, v8, -v3
	ds_write2_b64 v229, v[12:13], v[2:3] offset0:152 offset1:252
	v_mad_u64_u32 v[2:3], s[4:5], s8, v124, v[4:5]
	v_accvgpr_write_b32 a61, v9
	v_add_u32_e32 v3, s2, v3
	v_accvgpr_write_b32 a60, v8
	global_load_dwordx2 v[4:5], v[2:3], off
	global_load_dwordx2 v[8:9], v[190:191], off offset:320
	s_waitcnt vmcnt(0)
	v_mul_f32_e32 v6, v5, v9
	v_fmac_f32_e32 v6, v4, v8
	v_mul_f32_e32 v4, v4, v9
	v_fma_f32 v7, v5, v8, -v4
	v_add_u32_e32 v4, 0x4c00, v250
	ds_write2_b64 v4, v[10:11], v[6:7] offset0:68 offset1:168
	v_accvgpr_write_b32 a65, v4
	v_mad_u64_u32 v[4:5], s[4:5], s8, v124, v[2:3]
	v_add_u32_e32 v5, s2, v5
	global_load_dwordx2 v[2:3], v[4:5], off
	global_load_dwordx2 v[6:7], v[190:191], off offset:2720
	v_accvgpr_write_b32 a59, v9
	v_accvgpr_write_b32 a58, v8
	v_add_u32_e32 v8, 0x2400, v250
	v_mov_b32_e32 v75, v8
	s_mov_b32 s8, 0x3f737871
	s_mov_b32 s2, 0x3f167918
	;; [unrolled: 1-line block ×5, first 2 shown]
	s_waitcnt vmcnt(0)
	v_mul_f32_e32 v4, v3, v7
	v_fmac_f32_e32 v4, v2, v6
	v_mul_f32_e32 v2, v2, v7
	v_fma_f32 v5, v3, v6, -v2
	v_add_u32_e32 v2, 0x5400, v250
	ds_write2_b64 v2, v[0:1], v[4:5] offset0:112 offset1:212
	v_mul_lo_u16_e32 v0, 10, v228
	v_lshlrev_b32_e32 v125, 3, v0
	v_mul_u32_u24_e32 v0, 10, v74
	v_add_u32_e32 v4, 0x1000, v250
	v_mov_b32_e32 v20, v2
	s_waitcnt lgkmcnt(0)
	s_barrier
	v_lshlrev_b32_e32 v126, 3, v0
	ds_read2_b64 v[70:73], v250 offset1:100
	ds_read2_b64 v[0:3], v85 offset0:144 offset1:244
	ds_read2_b64 v[58:61], v4 offset0:88 offset1:188
	v_accvgpr_write_b32 a63, v7
	ds_read2_b64 v[66:69], v8 offset0:48 offset1:148
	v_accvgpr_write_b32 a62, v6
	v_mov_b32_e32 v176, v4
	ds_read2_b64 v[4:7], v119 offset0:104 offset1:204
	ds_read2_b64 v[8:11], v18 offset0:64 offset1:164
	;; [unrolled: 1-line block ×6, first 2 shown]
	v_mov_b32_e32 v87, v20
	s_waitcnt lgkmcnt(7)
	v_pk_add_f32 v[20:21], v[72:73], v[60:61]
	s_waitcnt lgkmcnt(3)
	v_pk_add_f32 v[22:23], v[68:69], v[36:37]
	v_pk_add_f32 v[20:21], v[20:21], v[68:69]
	v_pk_add_f32 v[32:33], v[68:69], v[36:37] neg_lo:[0,1] neg_hi:[0,1]
	v_pk_add_f32 v[20:21], v[20:21], v[36:37]
	s_waitcnt lgkmcnt(1)
	v_pk_add_f32 v[42:43], v[64:65], v[36:37] neg_lo:[0,1] neg_hi:[0,1]
	v_pk_add_f32 v[44:45], v[68:69], v[60:61] neg_lo:[0,1] neg_hi:[0,1]
	;; [unrolled: 1-line block ×4, first 2 shown]
	s_waitcnt lgkmcnt(0)
	v_pk_add_f32 v[48:49], v[4:5], v[16:17]
	v_pk_add_f32 v[24:25], v[60:61], v[64:65] neg_lo:[0,1] neg_hi:[0,1]
	v_pk_add_f32 v[36:37], v[44:45], v[36:37]
	v_pk_add_f32 v[44:45], v[4:5], v[16:17] neg_lo:[0,1] neg_hi:[0,1]
	v_pk_fma_f32 v[48:49], v[48:49], 0.5, v[0:1] op_sel_hi:[1,0,1] neg_lo:[1,0,0] neg_hi:[1,0,0]
	v_pk_mul_f32 v[50:51], v[46:47], s[8:9] op_sel_hi:[1,0]
	v_pk_add_f32 v[54:55], v[8:9], v[4:5] neg_lo:[0,1] neg_hi:[0,1]
	v_pk_add_f32 v[56:57], v[12:13], v[16:17] neg_lo:[0,1] neg_hi:[0,1]
	v_pk_fma_f32 v[22:23], v[22:23], 0.5, v[72:73] op_sel_hi:[1,0,1] neg_lo:[1,0,0] neg_hi:[1,0,0]
	v_pk_mul_f32 v[26:27], v[24:25], s[8:9] op_sel_hi:[1,0]
	v_pk_add_f32 v[40:41], v[60:61], v[68:69] neg_lo:[0,1] neg_hi:[0,1]
	v_pk_mul_f32 v[52:53], v[44:45], s[2:3] op_sel_hi:[1,0]
	v_pk_add_f32 v[54:55], v[54:55], v[56:57]
	v_pk_add_f32 v[56:57], v[48:49], v[50:51] op_sel:[0,1] op_sel_hi:[1,0] neg_lo:[0,1] neg_hi:[0,1]
	v_pk_add_f32 v[48:49], v[48:49], v[50:51] op_sel:[0,1] op_sel_hi:[1,0]
	v_pk_mul_f32 v[38:39], v[32:33], s[2:3] op_sel_hi:[1,0]
	v_pk_add_f32 v[40:41], v[40:41], v[42:43]
	v_pk_add_f32 v[42:43], v[22:23], v[26:27] op_sel:[0,1] op_sel_hi:[1,0]
	v_pk_add_f32 v[22:23], v[22:23], v[26:27] op_sel:[0,1] op_sel_hi:[1,0] neg_lo:[0,1] neg_hi:[0,1]
	v_pk_add_f32 v[48:49], v[48:49], v[52:53] op_sel:[0,1] op_sel_hi:[1,0] neg_lo:[0,1] neg_hi:[0,1]
	v_pk_add_f32 v[50:51], v[56:57], v[52:53] op_sel:[0,1] op_sel_hi:[1,0]
	v_pk_add_f32 v[22:23], v[22:23], v[38:39] op_sel:[0,1] op_sel_hi:[1,0] neg_lo:[0,1] neg_hi:[0,1]
	v_pk_add_f32 v[38:39], v[42:43], v[38:39] op_sel:[0,1] op_sel_hi:[1,0]
	v_mov_b32_e32 v52, v50
	v_mov_b32_e32 v53, v49
	;; [unrolled: 1-line block ×4, first 2 shown]
	v_pk_fma_f32 v[52:53], v[54:55], s[4:5], v[52:53] op_sel_hi:[1,0,1]
	v_pk_fma_f32 v[42:43], v[40:41], s[4:5], v[26:27] op_sel_hi:[1,0,1]
	v_pk_add_f32 v[26:27], v[60:61], v[64:65]
	v_pk_mul_f32 v[56:57], v[52:53], s[8:9] op_sel_hi:[1,0]
	v_pk_fma_f32 v[26:27], v[26:27], 0.5, v[72:73] op_sel_hi:[1,0,1] neg_lo:[1,0,0] neg_hi:[1,0,0]
	v_pk_fma_f32 v[60:61], v[52:53], s[4:5], v[56:57] op_sel:[0,0,1] op_sel_hi:[1,0,0]
	v_pk_fma_f32 v[52:53], v[52:53], s[4:5], v[56:57] op_sel:[0,0,1] op_sel_hi:[1,0,0] neg_lo:[0,0,1] neg_hi:[0,0,1]
	v_pk_mul_f32 v[32:33], v[32:33], s[8:9] op_sel_hi:[1,0]
	v_mov_b32_e32 v61, v53
	v_pk_mul_f32 v[24:25], v[24:25], s[2:3] op_sel_hi:[1,0]
	v_pk_add_f32 v[52:53], v[26:27], v[32:33] op_sel:[0,1] op_sel_hi:[1,0] neg_lo:[0,1] neg_hi:[0,1]
	v_pk_add_f32 v[26:27], v[26:27], v[32:33] op_sel:[0,1] op_sel_hi:[1,0]
	v_pk_add_f32 v[28:29], v[20:21], v[64:65]
	v_pk_add_f32 v[20:21], v[0:1], v[4:5]
	v_pk_add_f32 v[26:27], v[26:27], v[24:25] op_sel:[0,1] op_sel_hi:[1,0] neg_lo:[0,1] neg_hi:[0,1]
	v_pk_add_f32 v[32:33], v[52:53], v[24:25] op_sel:[0,1] op_sel_hi:[1,0]
	v_pk_add_f32 v[20:21], v[20:21], v[8:9]
	v_mov_b32_e32 v24, v32
	v_mov_b32_e32 v25, v27
	;; [unrolled: 1-line block ×3, first 2 shown]
	v_pk_add_f32 v[32:33], v[8:9], v[12:13]
	v_pk_add_f32 v[4:5], v[4:5], v[8:9] neg_lo:[0,1] neg_hi:[0,1]
	v_pk_add_f32 v[8:9], v[16:17], v[12:13] neg_lo:[0,1] neg_hi:[0,1]
	v_pk_add_f32 v[20:21], v[20:21], v[12:13]
	v_pk_fma_f32 v[0:1], v[32:33], 0.5, v[0:1] op_sel_hi:[1,0,1] neg_lo:[1,0,0] neg_hi:[1,0,0]
	v_pk_add_f32 v[4:5], v[4:5], v[8:9]
	v_mov_b32_e32 v23, v39
	v_pk_mul_f32 v[8:9], v[44:45], s[8:9] op_sel_hi:[1,0]
	v_pk_add_f32 v[30:31], v[20:21], v[16:17]
	v_pk_fma_f32 v[12:13], v[40:41], s[4:5], v[22:23] op_sel_hi:[1,0,1]
	v_pk_add_f32 v[16:17], v[0:1], v[8:9] op_sel:[0,1] op_sel_hi:[1,0]
	v_pk_mul_f32 v[22:23], v[46:47], s[2:3] op_sel_hi:[1,0]
	v_pk_add_f32 v[0:1], v[0:1], v[8:9] op_sel:[0,1] op_sel_hi:[1,0] neg_lo:[0,1] neg_hi:[0,1]
	v_pk_add_f32 v[16:17], v[22:23], v[16:17] op_sel:[1,0] op_sel_hi:[0,1]
	v_pk_add_f32 v[0:1], v[0:1], v[22:23] op_sel:[0,1] op_sel_hi:[1,0] neg_lo:[0,1] neg_hi:[0,1]
	v_pk_fma_f32 v[32:33], v[4:5], s[4:5], v[16:17] op_sel_hi:[1,0,1]
	v_pk_fma_f32 v[8:9], v[4:5], s[4:5], v[0:1] op_sel_hi:[1,0,1]
	v_mov_b32_e32 v1, v17
	v_pk_fma_f32 v[0:1], v[4:5], s[4:5], v[0:1] op_sel_hi:[1,0,1]
	s_mov_b32 s3, s10
	v_pk_mul_f32 v[4:5], v[0:1], s[10:11] op_sel_hi:[1,0]
	s_mov_b32 s11, s2
	v_pk_fma_f32 v[0:1], v[0:1], s[14:15], v[4:5] op_sel:[0,0,1] op_sel_hi:[1,1,0] neg_lo:[0,0,1] neg_hi:[0,0,1]
	v_pk_mul_f32 v[4:5], v[32:33], s[10:11] op_sel_hi:[0,1]
	v_pk_fma_f32 v[16:17], v[8:9], s[2:3], v[4:5] op_sel:[1,0,0]
	v_pk_fma_f32 v[4:5], v[8:9], s[2:3], v[4:5] op_sel:[1,0,0] neg_lo:[0,0,1] neg_hi:[0,0,1]
	v_mov_b32_e32 v49, v51
	v_mov_b32_e32 v17, v5
	v_pk_add_f32 v[8:9], v[12:13], v[0:1] op_sel:[1,0] op_sel_hi:[0,1]
	v_pk_add_f32 v[4:5], v[12:13], v[0:1] op_sel:[1,0] op_sel_hi:[0,1] neg_lo:[0,1] neg_hi:[0,1]
	v_mul_u32_u24_e32 v0, 10, v120
	v_pk_fma_f32 v[48:49], v[54:55], s[4:5], v[48:49] op_sel_hi:[1,0,1]
	v_lshlrev_b32_e32 v127, 3, v0
	v_add_u32_e32 v0, 0x400, v250
	v_pk_mul_f32 v[50:51], v[48:49], s[4:5] op_sel_hi:[1,0]
	ds_read2_b64 v[38:41], v0 offset0:72 offset1:172
	v_mov_b32_e32 v110, v0
	v_add_u32_e32 v0, 0x1800, v250
	v_pk_add_f32 v[20:21], v[28:29], v[30:31]
	v_pk_fma_f32 v[52:53], v[36:37], s[4:5], v[24:25] op_sel_hi:[1,0,1]
	v_pk_fma_f32 v[48:49], v[48:49], s[16:17], v[50:51] op_sel:[0,0,1] op_sel_hi:[1,1,0] neg_lo:[0,0,1] neg_hi:[0,0,1]
	v_pk_fma_f32 v[50:51], v[36:37], s[4:5], v[26:27] op_sel_hi:[1,0,1]
	v_pk_add_f32 v[22:23], v[42:43], v[16:17]
	v_pk_add_f32 v[36:37], v[28:29], v[30:31] neg_lo:[0,1] neg_hi:[0,1]
	v_pk_add_f32 v[30:31], v[42:43], v[16:17] neg_lo:[0,1] neg_hi:[0,1]
	ds_read2_b64 v[42:45], v0 offset0:32 offset1:132
	v_mov_b32_e32 v112, v0
	v_add_u32_e32 v0, 0x3c00, v250
	v_pk_add_f32 v[24:25], v[52:53], v[60:61]
	v_pk_add_f32 v[26:27], v[50:51], v[48:49] op_sel:[0,1] op_sel_hi:[1,0]
	v_pk_add_f32 v[32:33], v[52:53], v[60:61] neg_lo:[0,1] neg_hi:[0,1]
	v_pk_add_f32 v[28:29], v[50:51], v[48:49] op_sel:[0,1] op_sel_hi:[1,0] neg_lo:[0,1] neg_hi:[0,1]
	ds_read2_b64 v[50:53], v0 offset0:80 offset1:180
	v_mov_b32_e32 v118, v0
	v_add_u32_e32 v0, 0x5000, v250
	ds_read2_b64 v[46:49], v83 offset0:120 offset1:220
	ds_read2_b64 v[54:57], v0 offset0:40 offset1:140
	v_pk_add_f32 v[64:65], v[66:67], v[34:35]
	v_pk_add_f32 v[90:91], v[58:59], v[62:63] neg_lo:[0,1] neg_hi:[0,1]
	v_pk_fma_f32 v[64:65], v[64:65], 0.5, v[70:71] op_sel_hi:[1,0,1] neg_lo:[1,0,0] neg_hi:[1,0,0]
	v_pk_mul_f32 v[92:93], v[90:91], s[8:9] op_sel_hi:[1,0]
	v_pk_add_f32 v[94:95], v[66:67], v[34:35] neg_lo:[0,1] neg_hi:[0,1]
	v_pk_add_f32 v[98:99], v[58:59], v[66:67] neg_lo:[0,1] neg_hi:[0,1]
	v_pk_add_f32 v[100:101], v[62:63], v[34:35] neg_lo:[0,1] neg_hi:[0,1]
	v_pk_add_f32 v[60:61], v[70:71], v[58:59]
	v_pk_mul_f32 v[96:97], v[94:95], s[2:3] op_sel_hi:[1,0]
	v_pk_add_f32 v[98:99], v[98:99], v[100:101]
	v_pk_add_f32 v[100:101], v[64:65], v[92:93] op_sel:[0,1] op_sel_hi:[1,0]
	v_pk_add_f32 v[64:65], v[64:65], v[92:93] op_sel:[0,1] op_sel_hi:[1,0] neg_lo:[0,1] neg_hi:[0,1]
	v_pk_add_f32 v[60:61], v[60:61], v[66:67]
	v_pk_add_f32 v[92:93], v[64:65], v[96:97] op_sel:[0,1] op_sel_hi:[1,0] neg_lo:[0,1] neg_hi:[0,1]
	v_pk_add_f32 v[96:97], v[100:101], v[96:97] op_sel:[0,1] op_sel_hi:[1,0]
	v_pk_add_f32 v[60:61], v[60:61], v[34:35]
	v_mov_b32_e32 v64, v96
	v_mov_b32_e32 v65, v93
	v_pk_add_f32 v[68:69], v[60:61], v[62:63]
	v_pk_fma_f32 v[100:101], v[98:99], s[4:5], v[64:65] op_sel_hi:[1,0,1]
	v_pk_add_f32 v[64:65], v[58:59], v[62:63]
	v_pk_add_f32 v[58:59], v[66:67], v[58:59] neg_lo:[0,1] neg_hi:[0,1]
	v_pk_add_f32 v[34:35], v[34:35], v[62:63] neg_lo:[0,1] neg_hi:[0,1]
	s_waitcnt lgkmcnt(1)
	v_pk_add_f32 v[66:67], v[48:49], v[52:53] neg_lo:[0,1] neg_hi:[0,1]
	s_waitcnt lgkmcnt(0)
	v_pk_add_f32 v[62:63], v[44:45], v[56:57]
	v_pk_fma_f32 v[64:65], v[64:65], 0.5, v[70:71] op_sel_hi:[1,0,1] neg_lo:[1,0,0] neg_hi:[1,0,0]
	v_pk_add_f32 v[34:35], v[58:59], v[34:35]
	v_pk_add_f32 v[58:59], v[44:45], v[56:57] neg_lo:[0,1] neg_hi:[0,1]
	v_pk_fma_f32 v[62:63], v[62:63], 0.5, v[40:41] op_sel_hi:[1,0,1] neg_lo:[1,0,0] neg_hi:[1,0,0]
	v_pk_mul_f32 v[70:71], v[66:67], s[8:9] op_sel_hi:[1,0]
	v_pk_add_f32 v[104:105], v[48:49], v[44:45] neg_lo:[0,1] neg_hi:[0,1]
	v_pk_add_f32 v[106:107], v[52:53], v[56:57] neg_lo:[0,1] neg_hi:[0,1]
	v_pk_mul_f32 v[102:103], v[58:59], s[2:3] op_sel_hi:[1,0]
	v_pk_add_f32 v[104:105], v[104:105], v[106:107]
	v_pk_add_f32 v[106:107], v[62:63], v[70:71] op_sel:[0,1] op_sel_hi:[1,0] neg_lo:[0,1] neg_hi:[0,1]
	v_pk_add_f32 v[62:63], v[62:63], v[70:71] op_sel:[0,1] op_sel_hi:[1,0]
	v_pk_mul_f32 v[90:91], v[90:91], s[2:3] op_sel_hi:[1,0]
	v_pk_add_f32 v[70:71], v[62:63], v[102:103] op_sel:[0,1] op_sel_hi:[1,0] neg_lo:[0,1] neg_hi:[0,1]
	v_pk_add_f32 v[102:103], v[106:107], v[102:103] op_sel:[0,1] op_sel_hi:[1,0]
	v_mov_b32_e32 v63, v71
	v_mov_b32_e32 v62, v102
	v_pk_fma_f32 v[62:63], v[104:105], s[4:5], v[62:63] op_sel_hi:[1,0,1]
	v_mov_b32_e32 v71, v103
	v_pk_mul_f32 v[106:107], v[62:63], s[8:9] op_sel_hi:[1,0]
	v_pk_fma_f32 v[70:71], v[104:105], s[4:5], v[70:71] op_sel_hi:[1,0,1]
	v_pk_fma_f32 v[108:109], v[62:63], s[4:5], v[106:107] op_sel:[0,0,1] op_sel_hi:[1,0,0]
	v_pk_fma_f32 v[62:63], v[62:63], s[4:5], v[106:107] op_sel:[0,0,1] op_sel_hi:[1,0,0] neg_lo:[0,0,1] neg_hi:[0,0,1]
	v_pk_mul_f32 v[102:103], v[70:71], s[4:5] op_sel_hi:[1,0]
	v_mov_b32_e32 v109, v63
	v_pk_mul_f32 v[62:63], v[94:95], s[8:9] op_sel_hi:[1,0]
	v_pk_fma_f32 v[70:71], v[70:71], s[16:17], v[102:103] op_sel:[0,0,1] op_sel_hi:[1,1,0] neg_lo:[0,0,1] neg_hi:[0,0,1]
	v_pk_add_f32 v[94:95], v[64:65], v[62:63] op_sel:[0,1] op_sel_hi:[1,0] neg_lo:[0,1] neg_hi:[0,1]
	v_pk_add_f32 v[62:63], v[64:65], v[62:63] op_sel:[0,1] op_sel_hi:[1,0]
	v_pk_add_f32 v[60:61], v[40:41], v[44:45]
	v_pk_add_f32 v[64:65], v[62:63], v[90:91] op_sel:[0,1] op_sel_hi:[1,0] neg_lo:[0,1] neg_hi:[0,1]
	v_pk_add_f32 v[90:91], v[94:95], v[90:91] op_sel:[0,1] op_sel_hi:[1,0]
	v_mov_b32_e32 v63, v65
	v_mov_b32_e32 v62, v90
	;; [unrolled: 1-line block ×3, first 2 shown]
	v_pk_fma_f32 v[94:95], v[34:35], s[4:5], v[62:63] op_sel_hi:[1,0,1]
	v_pk_fma_f32 v[34:35], v[34:35], s[4:5], v[64:65] op_sel_hi:[1,0,1]
	v_pk_add_f32 v[62:63], v[94:95], v[108:109]
	v_pk_add_f32 v[64:65], v[34:35], v[70:71] op_sel:[0,1] op_sel_hi:[1,0]
	v_pk_add_f32 v[60:61], v[60:61], v[48:49]
	s_barrier
	ds_write_b128 v125, v[62:65] offset:16
	v_pk_add_f32 v[62:63], v[48:49], v[52:53]
	v_pk_add_f32 v[60:61], v[60:61], v[52:53]
	v_pk_fma_f32 v[40:41], v[62:63], 0.5, v[40:41] op_sel_hi:[1,0,1] neg_lo:[1,0,0] neg_hi:[1,0,0]
	v_pk_add_f32 v[44:45], v[44:45], v[48:49] neg_lo:[0,1] neg_hi:[0,1]
	v_pk_add_f32 v[48:49], v[56:57], v[52:53] neg_lo:[0,1] neg_hi:[0,1]
	v_pk_mul_f32 v[52:53], v[58:59], s[8:9] op_sel_hi:[1,0]
	v_pk_add_f32 v[72:73], v[60:61], v[56:57]
	v_pk_add_f32 v[56:57], v[40:41], v[52:53] op_sel:[0,1] op_sel_hi:[1,0]
	v_pk_mul_f32 v[58:59], v[66:67], s[2:3] op_sel_hi:[1,0]
	v_pk_add_f32 v[40:41], v[40:41], v[52:53] op_sel:[0,1] op_sel_hi:[1,0] neg_lo:[0,1] neg_hi:[0,1]
	v_pk_add_f32 v[44:45], v[44:45], v[48:49]
	v_pk_add_f32 v[56:57], v[58:59], v[56:57] op_sel:[1,0] op_sel_hi:[0,1]
	v_pk_add_f32 v[40:41], v[40:41], v[58:59] op_sel:[0,1] op_sel_hi:[1,0] neg_lo:[0,1] neg_hi:[0,1]
	v_pk_fma_f32 v[62:63], v[44:45], s[4:5], v[56:57] op_sel_hi:[1,0,1]
	v_pk_fma_f32 v[52:53], v[44:45], s[4:5], v[40:41] op_sel_hi:[1,0,1]
	v_mov_b32_e32 v41, v57
	v_pk_fma_f32 v[40:41], v[44:45], s[4:5], v[40:41] op_sel_hi:[1,0,1]
	v_mov_b32_e32 v93, v97
	v_pk_mul_f32 v[44:45], v[40:41], s[10:11] op_sel_hi:[1,0]
	v_pk_fma_f32 v[48:49], v[98:99], s[4:5], v[92:93] op_sel_hi:[1,0,1]
	v_pk_fma_f32 v[40:41], v[40:41], s[14:15], v[44:45] op_sel:[0,0,1] op_sel_hi:[1,1,0] neg_lo:[0,0,1] neg_hi:[0,0,1]
	v_pk_mul_f32 v[44:45], v[62:63], s[10:11] op_sel_hi:[0,1]
	v_pk_fma_f32 v[64:65], v[52:53], s[2:3], v[44:45] op_sel:[1,0,0]
	v_pk_fma_f32 v[44:45], v[52:53], s[2:3], v[44:45] op_sel:[1,0,0] neg_lo:[0,0,1] neg_hi:[0,0,1]
	v_pk_add_f32 v[58:59], v[68:69], v[72:73] neg_lo:[0,1] neg_hi:[0,1]
	v_mov_b32_e32 v65, v45
	v_pk_add_f32 v[44:45], v[48:49], v[40:41] op_sel:[1,0] op_sel_hi:[0,1]
	v_mov_b32_e32 v56, v45
	v_mov_b32_e32 v57, v44
	ds_write_b128 v125, v[56:59] offset:32
	v_pk_add_f32 v[56:57], v[100:101], v[64:65] neg_lo:[0,1] neg_hi:[0,1]
	v_pk_add_f32 v[58:59], v[94:95], v[108:109] neg_lo:[0,1] neg_hi:[0,1]
	ds_write_b128 v125, v[56:59] offset:48
	v_pk_add_f32 v[56:57], v[34:35], v[70:71] op_sel:[0,1] op_sel_hi:[1,0] neg_lo:[0,1] neg_hi:[0,1]
	v_pk_add_f32 v[34:35], v[48:49], v[40:41] op_sel:[1,0] op_sel_hi:[0,1] neg_lo:[0,1] neg_hi:[0,1]
	v_pk_add_f32 v[60:61], v[68:69], v[72:73]
	v_pk_add_f32 v[62:63], v[100:101], v[64:65]
	v_mov_b32_e32 v58, v35
	v_mov_b32_e32 v59, v34
	;; [unrolled: 1-line block ×4, first 2 shown]
	ds_write_b128 v125, v[60:63]
	ds_write_b128 v125, v[56:59] offset:64
	ds_write_b128 v126, v[24:27] offset:16
	ds_write_b128 v126, v[20:23]
	ds_write_b128 v126, v[34:37] offset:32
	ds_write_b128 v126, v[30:33] offset:48
	v_mov_b32_e32 v30, v5
	v_mov_b32_e32 v31, v4
	v_pk_add_f32 v[4:5], v[46:47], v[50:51]
	v_pk_add_f32 v[8:9], v[42:43], v[54:55] neg_lo:[0,1] neg_hi:[0,1]
	ds_write_b128 v126, v[28:31] offset:64
	v_pk_fma_f32 v[4:5], v[4:5], 0.5, v[38:39] op_sel_hi:[1,0,1] neg_lo:[1,0,0] neg_hi:[1,0,0]
	v_pk_mul_f32 v[20:21], v[8:9], s[8:9] op_sel_hi:[1,0]
	v_pk_add_f32 v[22:23], v[46:47], v[50:51] neg_lo:[0,1] neg_hi:[0,1]
	v_pk_add_f32 v[26:27], v[42:43], v[46:47] neg_lo:[0,1] neg_hi:[0,1]
	;; [unrolled: 1-line block ×3, first 2 shown]
	v_pk_mul_f32 v[24:25], v[22:23], s[2:3] op_sel_hi:[1,0]
	v_pk_add_f32 v[26:27], v[26:27], v[28:29]
	v_pk_add_f32 v[28:29], v[4:5], v[20:21] op_sel:[0,1] op_sel_hi:[1,0]
	v_pk_add_f32 v[4:5], v[4:5], v[20:21] op_sel:[0,1] op_sel_hi:[1,0] neg_lo:[0,1] neg_hi:[0,1]
	v_pk_add_f32 v[30:31], v[46:47], v[42:43] neg_lo:[0,1] neg_hi:[0,1]
	v_pk_add_f32 v[4:5], v[4:5], v[24:25] op_sel:[0,1] op_sel_hi:[1,0] neg_lo:[0,1] neg_hi:[0,1]
	v_pk_add_f32 v[24:25], v[28:29], v[24:25] op_sel:[0,1] op_sel_hi:[1,0]
	v_mov_b32_e32 v21, v5
	v_mov_b32_e32 v20, v24
	v_pk_fma_f32 v[28:29], v[26:27], s[4:5], v[20:21] op_sel_hi:[1,0,1]
	v_pk_add_f32 v[20:21], v[42:43], v[54:55]
	v_pk_add_f32 v[32:33], v[50:51], v[54:55] neg_lo:[0,1] neg_hi:[0,1]
	v_pk_add_f32 v[34:35], v[10:11], v[14:15] neg_lo:[0,1] neg_hi:[0,1]
	v_pk_add_f32 v[36:37], v[6:7], v[18:19]
	v_mov_b32_e32 v111, v0
	v_pk_add_f32 v[0:1], v[38:39], v[42:43]
	v_pk_fma_f32 v[20:21], v[20:21], 0.5, v[38:39] op_sel_hi:[1,0,1] neg_lo:[1,0,0] neg_hi:[1,0,0]
	v_pk_add_f32 v[30:31], v[30:31], v[32:33]
	v_pk_add_f32 v[32:33], v[6:7], v[18:19] neg_lo:[0,1] neg_hi:[0,1]
	v_pk_fma_f32 v[36:37], v[36:37], 0.5, v[2:3] op_sel_hi:[1,0,1] neg_lo:[1,0,0] neg_hi:[1,0,0]
	v_pk_mul_f32 v[38:39], v[34:35], s[8:9] op_sel_hi:[1,0]
	v_pk_add_f32 v[42:43], v[10:11], v[6:7] neg_lo:[0,1] neg_hi:[0,1]
	v_pk_add_f32 v[44:45], v[14:15], v[18:19] neg_lo:[0,1] neg_hi:[0,1]
	v_pk_mul_f32 v[40:41], v[32:33], s[2:3] op_sel_hi:[1,0]
	v_pk_add_f32 v[42:43], v[42:43], v[44:45]
	v_pk_add_f32 v[44:45], v[36:37], v[38:39] op_sel:[0,1] op_sel_hi:[1,0] neg_lo:[0,1] neg_hi:[0,1]
	v_pk_add_f32 v[36:37], v[36:37], v[38:39] op_sel:[0,1] op_sel_hi:[1,0]
	v_pk_add_f32 v[38:39], v[44:45], v[40:41] op_sel:[0,1] op_sel_hi:[1,0]
	v_pk_add_f32 v[36:37], v[36:37], v[40:41] op_sel:[0,1] op_sel_hi:[1,0] neg_lo:[0,1] neg_hi:[0,1]
	v_mov_b32_e32 v40, v38
	v_mov_b32_e32 v41, v37
	v_pk_fma_f32 v[40:41], v[42:43], s[4:5], v[40:41] op_sel_hi:[1,0,1]
	v_pk_add_f32 v[0:1], v[0:1], v[46:47]
	v_pk_mul_f32 v[44:45], v[40:41], s[8:9] op_sel_hi:[1,0]
	v_pk_mul_f32 v[22:23], v[22:23], s[8:9] op_sel_hi:[1,0]
	v_pk_fma_f32 v[46:47], v[40:41], s[4:5], v[44:45] op_sel:[0,0,1] op_sel_hi:[1,0,0]
	v_pk_fma_f32 v[40:41], v[40:41], s[4:5], v[44:45] op_sel:[0,0,1] op_sel_hi:[1,0,0] neg_lo:[0,0,1] neg_hi:[0,0,1]
	v_pk_mul_f32 v[8:9], v[8:9], s[2:3] op_sel_hi:[1,0]
	v_mov_b32_e32 v47, v41
	v_pk_add_f32 v[40:41], v[20:21], v[22:23] op_sel:[0,1] op_sel_hi:[1,0] neg_lo:[0,1] neg_hi:[0,1]
	v_pk_add_f32 v[20:21], v[20:21], v[22:23] op_sel:[0,1] op_sel_hi:[1,0]
	v_mov_b32_e32 v37, v39
	v_pk_add_f32 v[22:23], v[20:21], v[8:9] op_sel:[0,1] op_sel_hi:[1,0] neg_lo:[0,1] neg_hi:[0,1]
	v_pk_add_f32 v[8:9], v[40:41], v[8:9] op_sel:[0,1] op_sel_hi:[1,0]
	v_pk_fma_f32 v[36:37], v[42:43], s[4:5], v[36:37] op_sel_hi:[1,0,1]
	v_mov_b32_e32 v20, v8
	v_mov_b32_e32 v21, v23
	v_pk_mul_f32 v[38:39], v[36:37], s[4:5] op_sel_hi:[1,0]
	v_mov_b32_e32 v23, v9
	v_pk_add_f32 v[0:1], v[0:1], v[50:51]
	v_pk_fma_f32 v[40:41], v[30:31], s[4:5], v[20:21] op_sel_hi:[1,0,1]
	v_pk_fma_f32 v[36:37], v[36:37], s[16:17], v[38:39] op_sel:[0,0,1] op_sel_hi:[1,1,0] neg_lo:[0,0,1] neg_hi:[0,0,1]
	v_pk_fma_f32 v[8:9], v[30:31], s[4:5], v[22:23] op_sel_hi:[1,0,1]
	v_pk_add_f32 v[12:13], v[0:1], v[54:55]
	v_pk_add_f32 v[0:1], v[2:3], v[6:7]
	;; [unrolled: 1-line block ×3, first 2 shown]
	v_pk_add_f32 v[22:23], v[8:9], v[36:37] op_sel:[0,1] op_sel_hi:[1,0]
	v_pk_add_f32 v[0:1], v[0:1], v[10:11]
	ds_write_b128 v127, v[20:23] offset:16
	v_pk_add_f32 v[20:21], v[10:11], v[14:15]
	v_pk_add_f32 v[6:7], v[6:7], v[10:11] neg_lo:[0,1] neg_hi:[0,1]
	v_pk_add_f32 v[10:11], v[18:19], v[14:15] neg_lo:[0,1] neg_hi:[0,1]
	v_pk_add_f32 v[0:1], v[0:1], v[14:15]
	v_pk_fma_f32 v[2:3], v[20:21], 0.5, v[2:3] op_sel_hi:[1,0,1] neg_lo:[1,0,0] neg_hi:[1,0,0]
	v_pk_add_f32 v[6:7], v[6:7], v[10:11]
	v_pk_mul_f32 v[10:11], v[32:33], s[8:9] op_sel_hi:[1,0]
	v_pk_add_f32 v[16:17], v[0:1], v[18:19]
	v_pk_add_f32 v[14:15], v[2:3], v[10:11] op_sel:[0,1] op_sel_hi:[1,0]
	v_pk_mul_f32 v[18:19], v[34:35], s[2:3] op_sel_hi:[1,0]
	v_pk_add_f32 v[2:3], v[2:3], v[10:11] op_sel:[0,1] op_sel_hi:[1,0] neg_lo:[0,1] neg_hi:[0,1]
	v_pk_add_f32 v[14:15], v[18:19], v[14:15] op_sel:[1,0] op_sel_hi:[0,1]
	v_pk_add_f32 v[2:3], v[2:3], v[18:19] op_sel:[0,1] op_sel_hi:[1,0] neg_lo:[0,1] neg_hi:[0,1]
	v_pk_fma_f32 v[20:21], v[6:7], s[4:5], v[14:15] op_sel_hi:[1,0,1]
	v_pk_fma_f32 v[10:11], v[6:7], s[4:5], v[2:3] op_sel_hi:[1,0,1]
	v_mov_b32_e32 v3, v15
	v_pk_fma_f32 v[2:3], v[6:7], s[4:5], v[2:3] op_sel_hi:[1,0,1]
	v_mov_b32_e32 v5, v25
	v_pk_mul_f32 v[6:7], v[2:3], s[10:11] op_sel_hi:[1,0]
	v_pk_fma_f32 v[4:5], v[26:27], s[4:5], v[4:5] op_sel_hi:[1,0,1]
	v_pk_fma_f32 v[6:7], v[2:3], s[14:15], v[6:7] op_sel:[0,0,1] op_sel_hi:[1,1,0] neg_lo:[0,0,1] neg_hi:[0,0,1]
	v_pk_mul_f32 v[2:3], v[20:21], s[10:11] op_sel_hi:[0,1]
	v_pk_fma_f32 v[14:15], v[10:11], s[2:3], v[2:3] op_sel:[1,0,0]
	v_pk_fma_f32 v[2:3], v[10:11], s[2:3], v[2:3] op_sel:[1,0,0] neg_lo:[0,0,1] neg_hi:[0,0,1]
	v_pk_add_f32 v[0:1], v[12:13], v[16:17]
	v_mov_b32_e32 v15, v3
	v_pk_add_f32 v[2:3], v[28:29], v[14:15]
	v_pk_add_f32 v[10:11], v[4:5], v[6:7] op_sel:[1,0] op_sel_hi:[0,1]
	ds_write_b128 v127, v[0:3]
	v_pk_add_f32 v[2:3], v[12:13], v[16:17] neg_lo:[0,1] neg_hi:[0,1]
	v_mov_b32_e32 v0, v11
	v_mov_b32_e32 v1, v10
	ds_write_b128 v127, v[0:3] offset:32
	v_pk_add_f32 v[0:1], v[28:29], v[14:15] neg_lo:[0,1] neg_hi:[0,1]
	v_pk_add_f32 v[2:3], v[40:41], v[46:47] neg_lo:[0,1] neg_hi:[0,1]
	v_pk_add_f32 v[4:5], v[4:5], v[6:7] op_sel:[1,0] op_sel_hi:[0,1] neg_lo:[0,1] neg_hi:[0,1]
	ds_write_b128 v127, v[0:3] offset:48
	v_pk_add_f32 v[0:1], v[8:9], v[36:37] op_sel:[0,1] op_sel_hi:[1,0] neg_lo:[0,1] neg_hi:[0,1]
	v_mov_b32_e32 v2, v5
	v_mov_b32_e32 v3, v4
	s_movk_i32 s5, 0xcd
	ds_write_b128 v127, v[0:3] offset:64
	v_mul_lo_u16_sdwa v0, v228, s5 dst_sel:DWORD dst_unused:UNUSED_PAD src0_sel:BYTE_0 src1_sel:DWORD
	v_lshrrev_b16_e32 v0, 11, v0
	v_mul_lo_u16_e32 v1, 10, v0
	v_sub_u16_e32 v1, v228, v1
	v_and_b32_e32 v1, 0xff, v1
	v_lshlrev_b32_e32 v2, 4, v1
	s_waitcnt lgkmcnt(0)
	s_barrier
	global_load_dwordx4 v[242:245], v2, s[6:7]
	v_mul_lo_u16_sdwa v2, v74, s5 dst_sel:DWORD dst_unused:UNUSED_PAD src0_sel:BYTE_0 src1_sel:DWORD
	v_lshrrev_b16_e32 v2, 11, v2
	v_mul_lo_u16_e32 v3, 10, v2
	v_sub_u16_e32 v3, v74, v3
	v_and_b32_e32 v3, 0xff, v3
	v_lshlrev_b32_e32 v4, 4, v3
	s_mov_b32 s5, 0xcccd
	global_load_dwordx4 v[222:225], v4, s[6:7]
	v_mul_u32_u24_sdwa v4, v120, s5 dst_sel:DWORD dst_unused:UNUSED_PAD src0_sel:WORD_0 src1_sel:DWORD
	v_lshrrev_b32_e32 v4, 19, v4
	v_mul_lo_u16_e32 v5, 10, v4
	v_sub_u16_e32 v5, v120, v5
	v_lshlrev_b16_e32 v6, 1, v5
	v_lshlrev_b32_e32 v6, 3, v6
	global_load_dwordx4 v[24:27], v6, s[6:7]
	v_mul_u32_u24_sdwa v6, v76, s5 dst_sel:DWORD dst_unused:UNUSED_PAD src0_sel:WORD_0 src1_sel:DWORD
	v_lshrrev_b32_e32 v6, 19, v6
	v_mul_lo_u16_e32 v7, 10, v6
	v_sub_u16_e32 v7, v76, v7
	v_lshlrev_b16_e32 v8, 1, v7
	v_lshlrev_b32_e32 v8, 3, v8
	;; [unrolled: 7-line block ×8, first 2 shown]
	global_load_dwordx4 v[100:103], v20, s[6:7]
	v_mul_u32_u24_e32 v0, 30, v0
	v_add_lshl_u32 v146, v0, v1, 3
	v_mul_u32_u24_e32 v0, 30, v2
	v_add_lshl_u32 v145, v0, v3, 3
	v_mad_legacy_u16 v0, v4, 30, v5
	v_lshlrev_b32_e32 v144, 3, v0
	v_mad_legacy_u16 v0, v6, 30, v7
	v_lshlrev_b32_e32 v143, 3, v0
	;; [unrolled: 2-line block ×8, first 2 shown]
	ds_read2_b64 v[4:7], v112 offset0:32 offset1:132
	ds_read2_b64 v[0:3], v177 offset0:8 offset1:108
	ds_read2_b64 v[8:11], v87 offset0:112 offset1:212
	v_mov_b32_e32 v149, v87
	v_mov_b32_e32 v148, v112
	;; [unrolled: 1-line block ×3, first 2 shown]
	s_movk_i32 s9, 0x89
	s_movk_i32 s5, 0x48
	v_accvgpr_write_b32 a75, v121
	s_waitcnt vmcnt(9)
	v_accvgpr_write_b32 a122, v245
	v_accvgpr_write_b32 a73, v146
	s_waitcnt vmcnt(7)
	v_accvgpr_write_b32 a116, v27
	v_accvgpr_write_b32 a69, v145
	;; [unrolled: 1-line block ×10, first 2 shown]
	v_mov_b32_e32 v226, v148
	s_waitcnt vmcnt(6)
	v_accvgpr_write_b32 a114, v47
	v_mov_b32_e32 v216, v150
	s_waitcnt vmcnt(5)
	v_accvgpr_write_b32 a112, v51
	s_waitcnt vmcnt(4)
	v_accvgpr_write_b32 a110, v55
	;; [unrolled: 2-line block ×5, first 2 shown]
	s_waitcnt vmcnt(0) lgkmcnt(1)
	v_pk_mul_f32 v[12:13], v[2:3], v[100:101] op_sel:[0,1]
	s_nop 0
	v_pk_fma_f32 v[28:29], v[2:3], v[100:101], v[12:13] op_sel:[0,0,1] op_sel_hi:[1,1,0] neg_lo:[0,0,1] neg_hi:[0,0,1]
	v_pk_fma_f32 v[2:3], v[2:3], v[100:101], v[12:13] op_sel:[0,0,1] op_sel_hi:[1,0,0]
	v_mov_b32_e32 v12, v103
	v_mov_b32_e32 v29, v3
	s_waitcnt lgkmcnt(0)
	v_pk_mul_f32 v[2:3], v[10:11], v[12:13] op_sel_hi:[1,0]
	v_accvgpr_write_b32 a102, v103
	v_pk_fma_f32 v[32:33], v[10:11], v[102:103], v[2:3] op_sel:[0,0,1] op_sel_hi:[1,1,0] neg_lo:[0,0,1] neg_hi:[0,0,1]
	v_pk_fma_f32 v[2:3], v[10:11], v[102:103], v[2:3] op_sel:[0,0,1] op_sel_hi:[1,0,0]
	v_mov_b32_e32 v103, v85
	v_mov_b32_e32 v33, v3
	v_pk_add_f32 v[2:3], v[28:29], v[32:33]
	v_pk_add_f32 v[10:11], v[28:29], v[32:33] neg_lo:[0,1] neg_hi:[0,1]
	v_pk_fma_f32 v[2:3], v[2:3], 0.5, v[6:7] op_sel_hi:[1,0,1] neg_lo:[1,0,0] neg_hi:[1,0,0]
	v_pk_mul_f32 v[10:11], v[10:11], s[12:13] op_sel_hi:[1,0]
	s_nop 0
	v_pk_add_f32 v[30:31], v[2:3], v[10:11] op_sel:[0,1] op_sel_hi:[1,0] neg_lo:[0,1] neg_hi:[0,1]
	v_pk_add_f32 v[34:35], v[2:3], v[10:11] op_sel:[0,1] op_sel_hi:[1,0]
	v_pk_mul_f32 v[2:3], v[0:1], v[96:97] op_sel:[0,1]
	s_nop 0
	v_pk_fma_f32 v[36:37], v[0:1], v[96:97], v[2:3] op_sel:[0,0,1] op_sel_hi:[1,1,0] neg_lo:[0,0,1] neg_hi:[0,0,1]
	v_pk_fma_f32 v[0:1], v[0:1], v[96:97], v[2:3] op_sel:[0,0,1] op_sel_hi:[1,0,0]
	v_mov_b32_e32 v2, v99
	v_mov_b32_e32 v37, v1
	v_pk_mul_f32 v[0:1], v[8:9], v[2:3] op_sel_hi:[1,0]
	s_nop 0
	v_pk_fma_f32 v[40:41], v[8:9], v[98:99], v[0:1] op_sel:[0,0,1] op_sel_hi:[1,1,0] neg_lo:[0,0,1] neg_hi:[0,0,1]
	v_pk_fma_f32 v[0:1], v[8:9], v[98:99], v[0:1] op_sel:[0,0,1] op_sel_hi:[1,0,0]
	ds_read2_b64 v[8:11], v176 offset0:88 offset1:188
	ds_read2_b64 v[12:15], v89 offset0:64 offset1:164
	v_mov_b32_e32 v41, v1
	ds_read2_b64 v[16:19], v111 offset0:40 offset1:140
	v_pk_add_f32 v[0:1], v[36:37], v[40:41]
	v_pk_add_f32 v[2:3], v[36:37], v[40:41] neg_lo:[0,1] neg_hi:[0,1]
	v_pk_fma_f32 v[0:1], v[0:1], 0.5, v[4:5] op_sel_hi:[1,0,1] neg_lo:[1,0,0] neg_hi:[1,0,0]
	v_pk_mul_f32 v[2:3], v[2:3], s[12:13] op_sel_hi:[1,0]
	ds_read2_b64 v[20:23], v81 offset0:96 offset1:196
	v_pk_add_f32 v[38:39], v[0:1], v[2:3] op_sel:[0,1] op_sel_hi:[1,0] neg_lo:[0,1] neg_hi:[0,1]
	v_pk_add_f32 v[42:43], v[0:1], v[2:3] op_sel:[0,1] op_sel_hi:[1,0]
	s_waitcnt lgkmcnt(2)
	v_pk_mul_f32 v[0:1], v[14:15], v[76:77] op_sel:[0,1]
	v_mov_b32_e32 v2, v79
	v_pk_fma_f32 v[64:65], v[14:15], v[76:77], v[0:1] op_sel:[0,0,1] op_sel_hi:[1,1,0] neg_lo:[0,0,1] neg_hi:[0,0,1]
	v_pk_fma_f32 v[0:1], v[14:15], v[76:77], v[0:1] op_sel:[0,0,1] op_sel_hi:[1,0,0]
	v_mov_b32_e32 v99, v119
	v_mov_b32_e32 v65, v1
	s_waitcnt lgkmcnt(1)
	v_pk_mul_f32 v[0:1], v[18:19], v[2:3] op_sel_hi:[1,0]
	s_nop 0
	v_pk_fma_f32 v[66:67], v[18:19], v[78:79], v[0:1] op_sel:[0,0,1] op_sel_hi:[1,1,0] neg_lo:[0,0,1] neg_hi:[0,0,1]
	v_pk_fma_f32 v[0:1], v[18:19], v[78:79], v[0:1] op_sel:[0,0,1] op_sel_hi:[1,0,0]
	v_mov_b32_e32 v79, v83
	v_mov_b32_e32 v67, v1
	v_pk_add_f32 v[0:1], v[64:65], v[66:67]
	v_pk_add_f32 v[2:3], v[64:65], v[66:67] neg_lo:[0,1] neg_hi:[0,1]
	v_pk_fma_f32 v[0:1], v[0:1], 0.5, v[10:11] op_sel_hi:[1,0,1] neg_lo:[1,0,0] neg_hi:[1,0,0]
	v_pk_mul_f32 v[2:3], v[2:3], s[12:13] op_sel_hi:[1,0]
	s_nop 0
	v_pk_add_f32 v[60:61], v[0:1], v[2:3] op_sel:[0,1] op_sel_hi:[1,0] neg_lo:[0,1] neg_hi:[0,1]
	v_pk_add_f32 v[62:63], v[0:1], v[2:3] op_sel:[0,1] op_sel_hi:[1,0]
	v_pk_mul_f32 v[2:3], v[12:13], v[56:57] op_sel:[0,1]
	s_nop 0
	v_pk_fma_f32 v[0:1], v[12:13], v[56:57], v[2:3] op_sel:[0,0,1] op_sel_hi:[1,1,0] neg_lo:[0,0,1] neg_hi:[0,0,1]
	v_pk_fma_f32 v[2:3], v[12:13], v[56:57], v[2:3] op_sel:[0,0,1] op_sel_hi:[1,0,0]
	v_mov_b32_e32 v12, v59
	v_mov_b32_e32 v1, v3
	v_pk_mul_f32 v[2:3], v[16:17], v[12:13] op_sel_hi:[1,0]
	s_nop 0
	v_pk_fma_f32 v[68:69], v[16:17], v[58:59], v[2:3] op_sel:[0,0,1] op_sel_hi:[1,1,0] neg_lo:[0,0,1] neg_hi:[0,0,1]
	v_pk_fma_f32 v[2:3], v[16:17], v[58:59], v[2:3] op_sel:[0,0,1] op_sel_hi:[1,0,0]
	ds_read2_b64 v[16:19], v83 offset0:120 offset1:220
	v_mov_b32_e32 v69, v3
	v_pk_add_f32 v[2:3], v[0:1], v[68:69]
	v_mov_b32_e32 v59, v81
	v_pk_fma_f32 v[12:13], v[2:3], 0.5, v[8:9] op_sel_hi:[1,0,1] neg_lo:[1,0,0] neg_hi:[1,0,0]
	v_pk_add_f32 v[2:3], v[0:1], v[68:69] neg_lo:[0,1] neg_hi:[0,1]
	s_waitcnt lgkmcnt(0)
	v_pk_mul_f32 v[72:73], v[18:19], v[52:53] op_sel:[0,1]
	v_pk_mul_f32 v[14:15], v[2:3], s[12:13] op_sel_hi:[1,0]
	v_pk_add_f32 v[0:1], v[8:9], v[0:1]
	v_pk_add_f32 v[2:3], v[12:13], v[14:15] op_sel:[0,1] op_sel_hi:[1,0] neg_lo:[0,1] neg_hi:[0,1]
	v_pk_add_f32 v[70:71], v[12:13], v[14:15] op_sel:[0,1] op_sel_hi:[1,0]
	ds_read2_b64 v[12:15], v85 offset0:144 offset1:244
	v_pk_fma_f32 v[84:85], v[18:19], v[52:53], v[72:73] op_sel:[0,0,1] op_sel_hi:[1,1,0] neg_lo:[0,0,1] neg_hi:[0,0,1]
	v_pk_fma_f32 v[18:19], v[18:19], v[52:53], v[72:73] op_sel:[0,0,1] op_sel_hi:[1,0,0]
	v_mov_b32_e32 v72, v55
	v_mov_b32_e32 v85, v19
	v_pk_mul_f32 v[18:19], v[22:23], v[72:73] op_sel_hi:[1,0]
	v_pk_add_f32 v[0:1], v[0:1], v[68:69]
	v_pk_fma_f32 v[82:83], v[22:23], v[54:55], v[18:19] op_sel:[0,0,1] op_sel_hi:[1,1,0] neg_lo:[0,0,1] neg_hi:[0,0,1]
	v_pk_fma_f32 v[18:19], v[22:23], v[54:55], v[18:19] op_sel:[0,0,1] op_sel_hi:[1,0,0]
	v_mov_b32_e32 v55, v110
	v_mov_b32_e32 v83, v19
	v_pk_add_f32 v[18:19], v[84:85], v[82:83]
	v_pk_add_f32 v[22:23], v[84:85], v[82:83] neg_lo:[0,1] neg_hi:[0,1]
	s_waitcnt lgkmcnt(0)
	v_pk_fma_f32 v[18:19], v[18:19], 0.5, v[14:15] op_sel_hi:[1,0,1] neg_lo:[1,0,0] neg_hi:[1,0,0]
	v_pk_mul_f32 v[22:23], v[22:23], s[12:13] op_sel_hi:[1,0]
	v_mov_b32_e32 v8, v70
	v_pk_add_f32 v[72:73], v[18:19], v[22:23] op_sel:[0,1] op_sel_hi:[1,0] neg_lo:[0,1] neg_hi:[0,1]
	v_pk_add_f32 v[80:81], v[18:19], v[22:23] op_sel:[0,1] op_sel_hi:[1,0]
	v_pk_mul_f32 v[18:19], v[16:17], v[48:49] op_sel:[0,1]
	v_mov_b32_e32 v9, v3
	v_pk_fma_f32 v[86:87], v[16:17], v[48:49], v[18:19] op_sel:[0,0,1] op_sel_hi:[1,1,0] neg_lo:[0,0,1] neg_hi:[0,0,1]
	v_pk_fma_f32 v[16:17], v[16:17], v[48:49], v[18:19] op_sel:[0,0,1] op_sel_hi:[1,0,0]
	v_mov_b32_e32 v18, v51
	v_mov_b32_e32 v87, v17
	v_pk_mul_f32 v[16:17], v[20:21], v[18:19] op_sel_hi:[1,0]
	v_mov_b32_e32 v3, v71
	v_pk_fma_f32 v[90:91], v[20:21], v[50:51], v[16:17] op_sel:[0,0,1] op_sel_hi:[1,1,0] neg_lo:[0,0,1] neg_hi:[0,0,1]
	v_pk_fma_f32 v[16:17], v[20:21], v[50:51], v[16:17] op_sel:[0,0,1] op_sel_hi:[1,0,0]
	ds_read2_b64 v[20:23], v110 offset0:72 offset1:172
	v_mov_b32_e32 v91, v17
	v_pk_add_f32 v[16:17], v[86:87], v[90:91]
	v_pk_add_f32 v[18:19], v[86:87], v[90:91] neg_lo:[0,1] neg_hi:[0,1]
	v_pk_fma_f32 v[16:17], v[16:17], 0.5, v[12:13] op_sel_hi:[1,0,1] neg_lo:[1,0,0] neg_hi:[1,0,0]
	v_pk_mul_f32 v[18:19], v[18:19], s[12:13] op_sel_hi:[1,0]
	v_pk_add_f32 v[12:13], v[12:13], v[86:87]
	v_pk_add_f32 v[88:89], v[16:17], v[18:19] op_sel:[0,1] op_sel_hi:[1,0] neg_lo:[0,1] neg_hi:[0,1]
	v_pk_add_f32 v[92:93], v[16:17], v[18:19] op_sel:[0,1] op_sel_hi:[1,0]
	ds_read2_b64 v[16:19], v75 offset0:48 offset1:148
	ds_read2_b64 v[110:113], v229 offset0:152 offset1:252
	;; [unrolled: 1-line block ×4, first 2 shown]
	v_pk_add_f32 v[12:13], v[12:13], v[90:91]
	s_waitcnt lgkmcnt(3)
	v_pk_mul_f32 v[94:95], v[18:19], v[44:45] op_sel:[0,1]
	v_mov_b32_e32 v51, v75
	v_pk_fma_f32 v[108:109], v[18:19], v[44:45], v[94:95] op_sel:[0,0,1] op_sel_hi:[1,1,0] neg_lo:[0,0,1] neg_hi:[0,0,1]
	v_pk_fma_f32 v[18:19], v[18:19], v[44:45], v[94:95] op_sel:[0,0,1] op_sel_hi:[1,0,0]
	v_mov_b32_e32 v94, v47
	v_mov_b32_e32 v109, v19
	s_waitcnt lgkmcnt(2)
	v_pk_mul_f32 v[18:19], v[112:113], v[94:95] op_sel_hi:[1,0]
	s_nop 0
	v_pk_fma_f32 v[106:107], v[112:113], v[46:47], v[18:19] op_sel:[0,0,1] op_sel_hi:[1,1,0] neg_lo:[0,0,1] neg_hi:[0,0,1]
	v_pk_fma_f32 v[18:19], v[112:113], v[46:47], v[18:19] op_sel:[0,0,1] op_sel_hi:[1,0,0]
	v_mov_b32_e32 v47, v151
	v_mov_b32_e32 v107, v19
	v_pk_add_f32 v[18:19], v[108:109], v[106:107]
	v_pk_add_f32 v[94:95], v[108:109], v[106:107] neg_lo:[0,1] neg_hi:[0,1]
	v_pk_fma_f32 v[18:19], v[18:19], 0.5, v[22:23] op_sel_hi:[1,0,1] neg_lo:[1,0,0] neg_hi:[1,0,0]
	v_pk_mul_f32 v[104:105], v[94:95], s[12:13] op_sel_hi:[1,0]
	s_nop 0
	v_pk_add_f32 v[94:95], v[18:19], v[104:105] op_sel:[0,1] op_sel_hi:[1,0] neg_lo:[0,1] neg_hi:[0,1]
	v_pk_add_f32 v[104:105], v[18:19], v[104:105] op_sel:[0,1] op_sel_hi:[1,0]
	v_pk_mul_f32 v[18:19], v[16:17], v[24:25] op_sel:[0,1]
	s_nop 0
	v_pk_fma_f32 v[112:113], v[16:17], v[24:25], v[18:19] op_sel:[0,0,1] op_sel_hi:[1,1,0] neg_lo:[0,0,1] neg_hi:[0,0,1]
	v_pk_fma_f32 v[16:17], v[16:17], v[24:25], v[18:19] op_sel:[0,0,1] op_sel_hi:[1,0,0]
	v_mov_b32_e32 v18, v27
	v_mov_b32_e32 v113, v17
	v_pk_mul_f32 v[16:17], v[110:111], v[18:19] op_sel_hi:[1,0]
	s_nop 0
	v_pk_fma_f32 v[116:117], v[110:111], v[26:27], v[16:17] op_sel:[0,0,1] op_sel_hi:[1,1,0] neg_lo:[0,0,1] neg_hi:[0,0,1]
	v_pk_fma_f32 v[16:17], v[110:111], v[26:27], v[16:17] op_sel:[0,0,1] op_sel_hi:[1,0,0]
	v_mov_b32_e32 v27, v118
	s_waitcnt lgkmcnt(1)
	v_pk_mul_f32 v[118:119], v[130:131], v[222:223] op_sel:[0,1]
	v_mov_b32_e32 v117, v17
	v_pk_fma_f32 v[122:123], v[130:131], v[222:223], v[118:119] op_sel:[0,0,1] op_sel_hi:[1,1,0] neg_lo:[0,0,1] neg_hi:[0,0,1]
	v_pk_fma_f32 v[118:119], v[130:131], v[222:223], v[118:119] op_sel:[0,0,1] op_sel_hi:[1,0,0]
	v_mov_b32_e32 v130, v225
	v_pk_add_f32 v[16:17], v[112:113], v[116:117]
	v_pk_add_f32 v[18:19], v[112:113], v[116:117] neg_lo:[0,1] neg_hi:[0,1]
	v_mov_b32_e32 v123, v119
	s_waitcnt lgkmcnt(0)
	v_pk_mul_f32 v[118:119], v[134:135], v[130:131] op_sel_hi:[1,0]
	v_pk_fma_f32 v[16:17], v[16:17], 0.5, v[20:21] op_sel_hi:[1,0,1] neg_lo:[1,0,0] neg_hi:[1,0,0]
	v_pk_mul_f32 v[18:19], v[18:19], s[12:13] op_sel_hi:[1,0]
	v_pk_fma_f32 v[130:131], v[134:135], v[224:225], v[118:119] op_sel:[0,0,1] op_sel_hi:[1,1,0] neg_lo:[0,0,1] neg_hi:[0,0,1]
	v_pk_fma_f32 v[118:119], v[134:135], v[224:225], v[118:119] op_sel:[0,0,1] op_sel_hi:[1,0,0]
	v_pk_mul_f32 v[134:135], v[128:129], v[242:243] op_sel:[0,1]
	v_pk_add_f32 v[110:111], v[16:17], v[18:19] op_sel:[0,1] op_sel_hi:[1,0] neg_lo:[0,1] neg_hi:[0,1]
	v_pk_add_f32 v[114:115], v[16:17], v[18:19] op_sel:[0,1] op_sel_hi:[1,0]
	ds_read2_b64 v[16:19], v250 offset1:100
	v_pk_fma_f32 v[136:137], v[128:129], v[242:243], v[134:135] op_sel:[0,0,1] op_sel_hi:[1,1,0] neg_lo:[0,0,1] neg_hi:[0,0,1]
	v_pk_fma_f32 v[128:129], v[128:129], v[242:243], v[134:135] op_sel:[0,0,1] op_sel_hi:[1,0,0]
	v_mov_b32_e32 v134, v245
	v_mov_b32_e32 v137, v129
	v_pk_mul_f32 v[128:129], v[132:133], v[134:135] op_sel_hi:[1,0]
	v_mov_b32_e32 v131, v119
	v_pk_fma_f32 v[134:135], v[132:133], v[244:245], v[128:129] op_sel:[0,0,1] op_sel_hi:[1,1,0] neg_lo:[0,0,1] neg_hi:[0,0,1]
	v_pk_fma_f32 v[128:129], v[132:133], v[244:245], v[128:129] op_sel:[0,0,1] op_sel_hi:[1,0,0]
	s_waitcnt lgkmcnt(0)
	v_mov_b32_e32 v135, v129
	v_pk_add_f32 v[132:133], v[136:137], v[134:135]
	v_pk_add_f32 v[128:129], v[16:17], v[136:137]
	v_pk_fma_f32 v[16:17], v[132:133], 0.5, v[16:17] op_sel_hi:[1,0,1] neg_lo:[1,0,0] neg_hi:[1,0,0]
	v_pk_add_f32 v[132:133], v[136:137], v[134:135] neg_lo:[0,1] neg_hi:[0,1]
	v_pk_add_f32 v[128:129], v[128:129], v[134:135]
	v_pk_mul_f32 v[132:133], v[132:133], s[12:13] op_sel_hi:[1,0]
	s_barrier
	v_pk_add_f32 v[134:135], v[16:17], v[132:133] op_sel:[0,1] op_sel_hi:[1,0]
	v_pk_add_f32 v[16:17], v[16:17], v[132:133] op_sel:[0,1] op_sel_hi:[1,0] neg_lo:[0,1] neg_hi:[0,1]
	s_nop 0
	v_mov_b32_e32 v133, v17
	v_mov_b32_e32 v17, v135
	ds_write_b64 v146, v[16:17] offset:160
	v_pk_add_f32 v[16:17], v[122:123], v[130:131]
	v_pk_add_f32 v[118:119], v[18:19], v[122:123]
	v_pk_fma_f32 v[16:17], v[16:17], 0.5, v[18:19] op_sel_hi:[1,0,1] neg_lo:[1,0,0] neg_hi:[1,0,0]
	v_pk_add_f32 v[18:19], v[122:123], v[130:131] neg_lo:[0,1] neg_hi:[0,1]
	v_mov_b32_e32 v132, v134
	v_pk_mul_f32 v[18:19], v[18:19], s[12:13] op_sel_hi:[1,0]
	v_pk_add_f32 v[118:119], v[118:119], v[130:131]
	v_pk_add_f32 v[122:123], v[16:17], v[18:19] op_sel:[0,1] op_sel_hi:[1,0]
	v_pk_add_f32 v[16:17], v[16:17], v[18:19] op_sel:[0,1] op_sel_hi:[1,0] neg_lo:[0,1] neg_hi:[0,1]
	ds_write2_b64 v146, v[128:129], v[132:133] offset1:10
	v_mov_b32_e32 v19, v17
	v_mov_b32_e32 v17, v123
	;; [unrolled: 1-line block ×3, first 2 shown]
	ds_write_b64 v145, v[16:17] offset:160
	v_pk_add_f32 v[16:17], v[20:21], v[112:113]
	ds_write2_b64 v145, v[118:119], v[18:19] offset1:10
	v_pk_add_f32 v[16:17], v[16:17], v[116:117]
	v_mov_b32_e32 v18, v114
	v_mov_b32_e32 v19, v111
	ds_write2_b64 v144, v[16:17], v[18:19] offset1:10
	v_pk_add_f32 v[16:17], v[22:23], v[108:109]
	v_mov_b32_e32 v111, v115
	v_pk_add_f32 v[16:17], v[16:17], v[106:107]
	v_mov_b32_e32 v18, v104
	v_mov_b32_e32 v19, v95
	ds_write_b64 v144, v[110:111] offset:160
	ds_write2_b64 v143, v[16:17], v[18:19] offset1:10
	v_mov_b32_e32 v95, v105
	v_mov_b32_e32 v16, v92
	;; [unrolled: 1-line block ×3, first 2 shown]
	ds_write_b64 v143, v[94:95] offset:160
	ds_write2_b64 v142, v[12:13], v[16:17] offset1:10
	v_pk_add_f32 v[12:13], v[14:15], v[84:85]
	v_mov_b32_e32 v89, v93
	v_pk_add_f32 v[12:13], v[12:13], v[82:83]
	v_mov_b32_e32 v14, v80
	v_mov_b32_e32 v15, v73
	;; [unrolled: 1-line block ×3, first 2 shown]
	ds_write_b64 v142, v[88:89] offset:160
	ds_write2_b64 v141, v[12:13], v[14:15] offset1:10
	ds_write_b64 v141, v[72:73] offset:160
	ds_write2_b64 v140, v[0:1], v[8:9] offset1:10
	v_pk_add_f32 v[0:1], v[10:11], v[64:65]
	ds_write_b64 v140, v[2:3] offset:160
	v_pk_add_f32 v[0:1], v[0:1], v[66:67]
	v_mov_b32_e32 v2, v62
	v_mov_b32_e32 v3, v61
	ds_write2_b64 v139, v[0:1], v[2:3] offset1:10
	v_pk_add_f32 v[0:1], v[4:5], v[36:37]
	v_mov_b32_e32 v61, v63
	v_pk_add_f32 v[0:1], v[0:1], v[40:41]
	v_mov_b32_e32 v2, v42
	v_mov_b32_e32 v3, v39
	ds_write_b64 v139, v[60:61] offset:160
	ds_write2_b64 v138, v[0:1], v[2:3] offset1:10
	v_pk_add_f32 v[0:1], v[6:7], v[28:29]
	v_mov_b32_e32 v39, v43
	v_pk_add_f32 v[0:1], v[0:1], v[32:33]
	v_mov_b32_e32 v2, v34
	v_mov_b32_e32 v3, v31
	ds_write_b64 v138, v[38:39] offset:160
	ds_write2_b64 v121, v[0:1], v[2:3] offset1:10
	v_mul_lo_u16_sdwa v0, v228, s9 dst_sel:DWORD dst_unused:UNUSED_PAD src0_sel:BYTE_0 src1_sel:DWORD
	v_lshrrev_b16_e32 v2, 12, v0
	v_mul_lo_u16_e32 v0, 30, v2
	v_sub_u16_e32 v0, v228, v0
	v_and_b32_e32 v3, 0xff, v0
	v_mov_b64_e32 v[14:15], s[6:7]
	v_mov_b32_e32 v31, v35
	v_mad_u64_u32 v[0:1], s[18:19], v3, s5, v[14:15]
	ds_write_b64 v121, v[30:31] offset:160
	s_waitcnt lgkmcnt(0)
	s_barrier
	global_load_dwordx4 v[218:221], v[0:1], off offset:208
	global_load_dwordx4 v[84:87], v[0:1], off offset:192
	global_load_dwordx4 v[88:91], v[0:1], off offset:176
	global_load_dwordx4 v[92:95], v[0:1], off offset:160
	global_load_dwordx2 v[16:17], v[0:1], off offset:224
	v_mul_lo_u16_sdwa v0, v74, s9 dst_sel:DWORD dst_unused:UNUSED_PAD src0_sel:BYTE_0 src1_sel:DWORD
	v_lshrrev_b16_e32 v4, 12, v0
	v_mul_lo_u16_e32 v0, 30, v4
	v_sub_u16_e32 v0, v74, v0
	v_and_b32_e32 v5, 0xff, v0
	v_mad_u64_u32 v[0:1], s[18:19], v5, s5, v[14:15]
	s_mov_b32 s9, 0x8889
	global_load_dwordx4 v[104:107], v[0:1], off offset:208
	global_load_dwordx4 v[108:111], v[0:1], off offset:192
	;; [unrolled: 1-line block ×4, first 2 shown]
	global_load_dwordx2 v[18:19], v[0:1], off offset:224
	v_mul_u32_u24_sdwa v0, v120, s9 dst_sel:DWORD dst_unused:UNUSED_PAD src0_sel:WORD_0 src1_sel:DWORD
	v_lshrrev_b32_e32 v6, 20, v0
	v_mul_lo_u16_e32 v0, 30, v6
	v_sub_u16_e32 v7, v120, v0
	v_mul_lo_u16_e32 v0, 0x48, v7
	v_mov_b32_e32 v1, v251
	v_lshl_add_u64 v[0:1], s[6:7], 0, v[0:1]
	global_load_dwordx4 v[120:123], v[0:1], off offset:208
	global_load_dwordx4 v[80:83], v[0:1], off offset:192
	;; [unrolled: 1-line block ×4, first 2 shown]
	global_load_dwordx2 v[8:9], v[0:1], off offset:224
	v_mul_u32_u24_e32 v0, 0x12c, v2
	s_movk_i32 s6, 0x12c
	v_add_lshl_u32 v251, v0, v3, 3
	v_mul_u32_u24_e32 v0, 0x12c, v4
	v_add_lshl_u32 v245, v0, v5, 3
	v_mad_legacy_u16 v0, v6, s6, v7
	ds_read2_b64 v[4:7], v55 offset0:72 offset1:172
	ds_read2_b64 v[144:147], v103 offset0:144 offset1:244
	ds_read2_b64 v[32:35], v148 offset0:32 offset1:132
	v_lshlrev_b32_e32 v225, 3, v0
	ds_read2_b64 v[140:143], v99 offset0:104 offset1:204
	ds_read2_b64 v[28:31], v79 offset0:120 offset1:220
	;; [unrolled: 1-line block ×6, first 2 shown]
	v_mov_b32_e32 v217, v27
	ds_read2_b64 v[64:67], v149 offset0:112 offset1:212
	v_mov_b32_e32 v27, v149
	s_mov_b32 s6, s2
	s_mov_b32 s7, s14
	s_waitcnt vmcnt(14)
	v_accvgpr_write_b32 a134, v221
	s_waitcnt vmcnt(13)
	v_accvgpr_write_b32 a132, v87
	;; [unrolled: 2-line block ×4, first 2 shown]
	v_accvgpr_write_b32 a120, v16
	s_waitcnt vmcnt(9)
	v_accvgpr_write_b32 a150, v107
	s_waitcnt vmcnt(7)
	;; [unrolled: 2-line block ×3, first 2 shown]
	v_accvgpr_write_b32 a125, v19
	v_accvgpr_write_b32 a124, v18
	s_waitcnt vmcnt(4)
	v_accvgpr_write_b32 a146, v123
	s_waitcnt vmcnt(3)
	;; [unrolled: 2-line block ×3, first 2 shown]
	v_accvgpr_write_b32 a140, v131
	s_waitcnt vmcnt(1) lgkmcnt(8)
	v_pk_mul_f32 v[0:1], v[146:147], v[132:133] op_sel_hi:[1,0]
	v_mov_b32_e32 v2, v133
	v_pk_fma_f32 v[74:75], v[146:147], v[2:3], v[0:1] op_sel:[0,0,1] op_sel_hi:[1,1,0]
	v_pk_fma_f32 v[0:1], v[146:147], v[132:133], v[0:1] op_sel:[0,1,1] op_sel_hi:[1,1,0] neg_lo:[1,0,0] neg_hi:[1,0,0]
	v_mov_b32_e32 v2, v135
	v_mov_b32_e32 v75, v1
	s_waitcnt lgkmcnt(7)
	v_pk_mul_f32 v[0:1], v[32:33], v[2:3] op_sel_hi:[1,0]
	v_mov_b32_e32 v2, v129
	v_pk_fma_f32 v[146:147], v[32:33], v[134:135], v[0:1] op_sel:[0,0,1] op_sel_hi:[1,1,0] neg_lo:[0,0,1] neg_hi:[0,0,1]
	v_pk_fma_f32 v[0:1], v[32:33], v[134:135], v[0:1] op_sel:[0,0,1] op_sel_hi:[1,0,0]
	s_waitcnt vmcnt(0)
	v_accvgpr_write_b32 a131, v9
	v_mov_b32_e32 v147, v1
	s_waitcnt lgkmcnt(6)
	v_pk_mul_f32 v[0:1], v[142:143], v[128:129] op_sel_hi:[1,0]
	v_accvgpr_write_b32 a130, v8
	v_pk_fma_f32 v[32:33], v[142:143], v[2:3], v[0:1] op_sel:[0,0,1] op_sel_hi:[1,1,0]
	v_pk_fma_f32 v[0:1], v[142:143], v[128:129], v[0:1] op_sel:[0,1,1] op_sel_hi:[1,1,0] neg_lo:[1,0,0] neg_hi:[1,0,0]
	v_mov_b32_e32 v2, v131
	v_mov_b32_e32 v33, v1
	s_waitcnt lgkmcnt(5)
	v_pk_mul_f32 v[0:1], v[28:29], v[2:3] op_sel_hi:[1,0]
	v_mov_b32_e32 v2, v81
	v_pk_fma_f32 v[142:143], v[28:29], v[130:131], v[0:1] op_sel:[0,0,1] op_sel_hi:[1,1,0] neg_lo:[0,0,1] neg_hi:[0,0,1]
	v_pk_fma_f32 v[0:1], v[28:29], v[130:131], v[0:1] op_sel:[0,0,1] op_sel_hi:[1,0,0]
	v_mov_b32_e32 v131, v51
	v_mov_b32_e32 v143, v1
	s_waitcnt lgkmcnt(4)
	v_pk_mul_f32 v[0:1], v[138:139], v[80:81] op_sel_hi:[1,0]
	s_nop 0
	v_pk_fma_f32 v[28:29], v[138:139], v[2:3], v[0:1] op_sel:[0,0,1] op_sel_hi:[1,1,0]
	v_pk_fma_f32 v[0:1], v[138:139], v[80:81], v[0:1] op_sel:[0,1,1] op_sel_hi:[1,1,0] neg_lo:[1,0,0] neg_hi:[1,0,0]
	v_mov_b32_e32 v2, v83
	v_mov_b32_e32 v29, v1
	s_waitcnt lgkmcnt(3)
	v_pk_mul_f32 v[0:1], v[20:21], v[2:3] op_sel_hi:[1,0]
	v_mov_b32_e32 v2, v121
	v_pk_fma_f32 v[148:149], v[20:21], v[82:83], v[0:1] op_sel:[0,0,1] op_sel_hi:[1,1,0] neg_lo:[0,0,1] neg_hi:[0,0,1]
	v_pk_fma_f32 v[0:1], v[20:21], v[82:83], v[0:1] op_sel:[0,0,1] op_sel_hi:[1,0,0]
	v_mov_b32_e32 v83, v176
	v_mov_b32_e32 v149, v1
	s_waitcnt lgkmcnt(2)
	v_pk_mul_f32 v[0:1], v[72:73], v[120:121] op_sel_hi:[1,0]
	v_pk_add_f32 v[158:159], v[142:143], v[148:149] neg_lo:[0,1] neg_hi:[0,1]
	v_pk_fma_f32 v[138:139], v[72:73], v[2:3], v[0:1] op_sel:[0,0,1] op_sel_hi:[1,1,0]
	v_pk_fma_f32 v[0:1], v[72:73], v[120:121], v[0:1] op_sel:[0,1,1] op_sel_hi:[1,1,0] neg_lo:[1,0,0] neg_hi:[1,0,0]
	v_mov_b32_e32 v2, v123
	v_mov_b32_e32 v139, v1
	s_waitcnt lgkmcnt(1)
	v_pk_mul_f32 v[0:1], v[10:11], v[2:3] op_sel_hi:[1,0]
	v_mov_b32_e32 v2, v9
	v_pk_fma_f32 v[150:151], v[10:11], v[122:123], v[0:1] op_sel:[0,0,1] op_sel_hi:[1,1,0] neg_lo:[0,0,1] neg_hi:[0,0,1]
	v_pk_fma_f32 v[0:1], v[10:11], v[122:123], v[0:1] op_sel:[0,0,1] op_sel_hi:[1,0,0]
	v_pk_add_f32 v[154:155], v[28:29], v[138:139] neg_lo:[0,1] neg_hi:[0,1]
	v_mov_b32_e32 v151, v1
	s_waitcnt lgkmcnt(0)
	v_pk_mul_f32 v[0:1], v[66:67], v[8:9] op_sel_hi:[1,0]
	v_pk_add_f32 v[156:157], v[146:147], v[150:151] neg_lo:[0,1] neg_hi:[0,1]
	v_pk_fma_f32 v[72:73], v[66:67], v[2:3], v[0:1] op_sel:[0,0,1] op_sel_hi:[1,1,0]
	v_pk_fma_f32 v[0:1], v[66:67], v[8:9], v[0:1] op_sel:[0,1,1] op_sel_hi:[1,1,0] neg_lo:[1,0,0] neg_hi:[1,0,0]
	v_pk_add_f32 v[2:3], v[146:147], v[142:143] neg_lo:[0,1] neg_hi:[0,1]
	v_mov_b32_e32 v73, v1
	v_pk_add_f32 v[0:1], v[142:143], v[148:149]
	v_pk_add_f32 v[8:9], v[150:151], v[148:149] neg_lo:[0,1] neg_hi:[0,1]
	v_pk_fma_f32 v[0:1], v[0:1], 0.5, v[4:5] op_sel_hi:[1,0,1] neg_lo:[1,0,0] neg_hi:[1,0,0]
	v_pk_add_f32 v[160:161], v[2:3], v[8:9]
	v_pk_fma_f32 v[2:3], v[156:157], s[8:9], v[0:1] op_sel:[1,0,0] op_sel_hi:[0,0,1] neg_lo:[1,0,0] neg_hi:[1,0,0]
	v_pk_fma_f32 v[0:1], v[156:157], s[8:9], v[0:1] op_sel:[1,0,0] op_sel_hi:[0,0,1]
	v_pk_fma_f32 v[162:163], v[158:159], s[2:3], v[0:1] op_sel:[1,0,0] op_sel_hi:[0,0,1]
	v_pk_fma_f32 v[164:165], v[158:159], s[2:3], v[2:3] op_sel:[1,0,0] op_sel_hi:[0,0,1] neg_lo:[1,0,0] neg_hi:[1,0,0]
	v_mov_b32_e32 v0, v164
	v_mov_b32_e32 v1, v163
	v_pk_fma_f32 v[172:173], v[160:161], s[4:5], v[0:1] op_sel_hi:[1,0,1]
	v_pk_add_f32 v[0:1], v[28:29], v[138:139]
	v_pk_add_f32 v[152:153], v[32:33], v[72:73] neg_lo:[0,1] neg_hi:[0,1]
	v_pk_fma_f32 v[0:1], v[0:1], 0.5, v[74:75] op_sel_hi:[1,0,1] neg_lo:[1,0,0] neg_hi:[1,0,0]
	v_pk_add_f32 v[2:3], v[32:33], v[28:29] neg_lo:[0,1] neg_hi:[0,1]
	v_pk_add_f32 v[8:9], v[72:73], v[138:139] neg_lo:[0,1] neg_hi:[0,1]
	v_mov_b32_e32 v123, v177
	v_pk_add_f32 v[166:167], v[2:3], v[8:9]
	v_pk_fma_f32 v[2:3], v[152:153], s[8:9], v[0:1] op_sel:[1,0,0] op_sel_hi:[0,0,1]
	v_pk_fma_f32 v[0:1], v[152:153], s[8:9], v[0:1] op_sel:[1,0,0] op_sel_hi:[0,0,1] neg_lo:[1,0,0] neg_hi:[1,0,0]
	v_pk_fma_f32 v[168:169], v[154:155], s[2:3], v[0:1] op_sel:[1,0,0] op_sel_hi:[0,0,1] neg_lo:[1,0,0] neg_hi:[1,0,0]
	v_pk_fma_f32 v[170:171], v[154:155], s[2:3], v[2:3] op_sel:[1,0,0] op_sel_hi:[0,0,1]
	v_mov_b32_e32 v0, v170
	v_mov_b32_e32 v1, v169
	v_pk_fma_f32 v[0:1], v[166:167], s[4:5], v[0:1] op_sel_hi:[1,0,1]
	ds_read2_b64 v[8:11], v250 offset1:100
	ds_read2_b64 v[66:69], v176 offset0:88 offset1:188
	ds_read2_b64 v[60:63], v51 offset0:48 offset1:148
	v_pk_mul_f32 v[2:3], v[0:1], s[10:11] op_sel_hi:[1,0]
	ds_read2_b64 v[40:43], v177 offset0:8 offset1:108
	ds_read2_b64 v[36:39], v59 offset0:96 offset1:196
	v_pk_fma_f32 v[174:175], v[0:1], s[6:7], v[2:3] op_sel:[0,0,1] op_sel_hi:[1,1,0] neg_lo:[0,0,1] neg_hi:[0,0,1]
	v_pk_mul_f32 v[0:1], v[144:145], v[116:117] op_sel:[0,1]
	v_mov_b32_e32 v2, v119
	v_pk_fma_f32 v[176:177], v[144:145], v[116:117], v[0:1] op_sel:[0,0,1] op_sel_hi:[1,1,0] neg_lo:[0,0,1] neg_hi:[0,0,1]
	v_pk_fma_f32 v[0:1], v[144:145], v[116:117], v[0:1] op_sel:[0,0,1] op_sel_hi:[1,0,0]
	s_waitcnt lgkmcnt(0)
	v_mov_b32_e32 v177, v1
	v_pk_mul_f32 v[0:1], v[68:69], v[2:3] op_sel_hi:[1,0]
	v_mov_b32_e32 v2, v115
	v_pk_fma_f32 v[144:145], v[68:69], v[118:119], v[0:1] op_sel:[0,0,1] op_sel_hi:[1,1,0] neg_lo:[0,0,1] neg_hi:[0,0,1]
	v_pk_fma_f32 v[0:1], v[68:69], v[118:119], v[0:1] op_sel:[0,0,1] op_sel_hi:[1,0,0]
	s_barrier
	v_mov_b32_e32 v145, v1
	v_pk_mul_f32 v[0:1], v[140:141], v[112:113] op_sel:[0,1]
	s_nop 0
	v_pk_fma_f32 v[68:69], v[140:141], v[112:113], v[0:1] op_sel:[0,0,1] op_sel_hi:[1,1,0] neg_lo:[0,0,1] neg_hi:[0,0,1]
	v_pk_fma_f32 v[0:1], v[140:141], v[112:113], v[0:1] op_sel:[0,0,1] op_sel_hi:[1,0,0]
	v_mov_b32_e32 v169, v171
	v_mov_b32_e32 v69, v1
	v_pk_mul_f32 v[0:1], v[62:63], v[2:3] op_sel_hi:[1,0]
	v_mov_b32_e32 v2, v111
	v_pk_fma_f32 v[140:141], v[62:63], v[114:115], v[0:1] op_sel:[0,0,1] op_sel_hi:[1,1,0] neg_lo:[0,0,1] neg_hi:[0,0,1]
	v_pk_fma_f32 v[0:1], v[62:63], v[114:115], v[0:1] op_sel:[0,0,1] op_sel_hi:[1,0,0]
	v_mov_b32_e32 v163, v165
	v_mov_b32_e32 v141, v1
	v_pk_mul_f32 v[0:1], v[136:137], v[108:109] op_sel:[0,1]
	v_pk_add_f32 v[20:21], v[172:173], v[174:175] neg_lo:[0,1] neg_hi:[0,1]
	v_pk_fma_f32 v[62:63], v[136:137], v[108:109], v[0:1] op_sel:[0,0,1] op_sel_hi:[1,1,0] neg_lo:[0,0,1] neg_hi:[0,0,1]
	v_pk_fma_f32 v[0:1], v[136:137], v[108:109], v[0:1] op_sel:[0,0,1] op_sel_hi:[1,0,0]
	v_mov_b32_e32 v51, v59
	v_mov_b32_e32 v63, v1
	v_pk_mul_f32 v[0:1], v[42:43], v[2:3] op_sel_hi:[1,0]
	v_mov_b32_e32 v2, v107
	v_pk_fma_f32 v[136:137], v[42:43], v[110:111], v[0:1] op_sel:[0,0,1] op_sel_hi:[1,1,0] neg_lo:[0,0,1] neg_hi:[0,0,1]
	v_pk_fma_f32 v[0:1], v[42:43], v[110:111], v[0:1] op_sel:[0,0,1] op_sel_hi:[1,0,0]
	v_mov_b32_e32 v115, v226
	v_mov_b32_e32 v137, v1
	v_pk_mul_f32 v[0:1], v[70:71], v[104:105] op_sel:[0,1]
	v_mov_b32_e32 v59, v83
	v_pk_fma_f32 v[178:179], v[70:71], v[104:105], v[0:1] op_sel:[0,0,1] op_sel_hi:[1,1,0] neg_lo:[0,0,1] neg_hi:[0,0,1]
	v_pk_fma_f32 v[0:1], v[70:71], v[104:105], v[0:1] op_sel:[0,0,1] op_sel_hi:[1,0,0]
	s_nop 0
	v_mov_b32_e32 v179, v1
	v_pk_mul_f32 v[0:1], v[38:39], v[2:3] op_sel_hi:[1,0]
	v_pk_mul_f32 v[2:3], v[6:7], v[92:93] op_sel:[0,1]
	v_pk_fma_f32 v[70:71], v[38:39], v[106:107], v[0:1] op_sel:[0,0,1] op_sel_hi:[1,1,0] neg_lo:[0,0,1] neg_hi:[0,0,1]
	v_pk_fma_f32 v[0:1], v[38:39], v[106:107], v[0:1] op_sel:[0,0,1] op_sel_hi:[1,0,0]
	v_add_u32_e32 v107, 0x400, v251
	v_mov_b32_e32 v71, v1
	v_pk_mul_f32 v[0:1], v[64:65], v[18:19] op_sel:[0,1]
	s_nop 0
	v_pk_fma_f32 v[180:181], v[64:65], v[18:19], v[0:1] op_sel:[0,0,1] op_sel_hi:[1,1,0] neg_lo:[0,0,1] neg_hi:[0,0,1]
	v_pk_fma_f32 v[0:1], v[64:65], v[18:19], v[0:1] op_sel:[0,0,1] op_sel_hi:[1,0,0]
	v_mov_b32_e32 v18, v91
	v_mov_b32_e32 v181, v1
	v_pk_add_f32 v[0:1], v[10:11], v[144:145]
	s_nop 0
	v_pk_add_f32 v[0:1], v[0:1], v[140:141]
	s_nop 0
	;; [unrolled: 2-line block ×3, first 2 shown]
	v_pk_add_f32 v[38:39], v[0:1], v[70:71]
	v_pk_add_f32 v[0:1], v[176:177], v[68:69]
	s_nop 0
	v_pk_add_f32 v[0:1], v[0:1], v[62:63]
	s_nop 0
	;; [unrolled: 2-line block ×3, first 2 shown]
	v_pk_add_f32 v[42:43], v[0:1], v[180:181]
	v_pk_fma_f32 v[0:1], v[6:7], v[92:93], v[2:3] op_sel:[0,0,1] op_sel_hi:[1,1,0] neg_lo:[0,0,1] neg_hi:[0,0,1]
	v_pk_fma_f32 v[2:3], v[6:7], v[92:93], v[2:3] op_sel:[0,0,1] op_sel_hi:[1,0,0]
	v_pk_add_f32 v[64:65], v[38:39], v[42:43]
	v_mov_b32_e32 v2, v95
	v_pk_mul_f32 v[6:7], v[66:67], v[2:3] op_sel_hi:[1,0]
	v_mov_b32_e32 v1, v3
	v_pk_fma_f32 v[2:3], v[66:67], v[94:95], v[6:7] op_sel:[0,0,1] op_sel_hi:[1,1,0] neg_lo:[0,0,1] neg_hi:[0,0,1]
	v_pk_fma_f32 v[6:7], v[66:67], v[94:95], v[6:7] op_sel:[0,0,1] op_sel_hi:[1,0,0]
	v_pk_mul_f32 v[66:67], v[34:35], v[88:89] op_sel:[0,1]
	v_mov_b32_e32 v3, v7
	v_pk_fma_f32 v[6:7], v[34:35], v[88:89], v[66:67] op_sel:[0,0,1] op_sel_hi:[1,1,0] neg_lo:[0,0,1] neg_hi:[0,0,1]
	v_pk_fma_f32 v[34:35], v[34:35], v[88:89], v[66:67] op_sel:[0,0,1] op_sel_hi:[1,0,0]
	v_pk_mul_f32 v[66:67], v[60:61], v[18:19] op_sel_hi:[1,0]
	v_mov_b32_e32 v7, v35
	v_pk_fma_f32 v[34:35], v[60:61], v[90:91], v[66:67] op_sel:[0,0,1] op_sel_hi:[1,1,0] neg_lo:[0,0,1] neg_hi:[0,0,1]
	v_pk_fma_f32 v[60:61], v[60:61], v[90:91], v[66:67] op_sel:[0,0,1] op_sel_hi:[1,0,0]
	v_pk_mul_f32 v[66:67], v[30:31], v[84:85] op_sel:[0,1]
	v_mov_b32_e32 v18, v87
	v_mov_b32_e32 v35, v61
	v_pk_fma_f32 v[60:61], v[30:31], v[84:85], v[66:67] op_sel:[0,0,1] op_sel_hi:[1,1,0] neg_lo:[0,0,1] neg_hi:[0,0,1]
	v_pk_fma_f32 v[30:31], v[30:31], v[84:85], v[66:67] op_sel:[0,0,1] op_sel_hi:[1,0,0]
	v_pk_mul_f32 v[66:67], v[40:41], v[18:19] op_sel_hi:[1,0]
	v_mov_b32_e32 v61, v31
	v_pk_fma_f32 v[30:31], v[40:41], v[86:87], v[66:67] op_sel:[0,0,1] op_sel_hi:[1,1,0] neg_lo:[0,0,1] neg_hi:[0,0,1]
	v_pk_fma_f32 v[40:41], v[40:41], v[86:87], v[66:67] op_sel:[0,0,1] op_sel_hi:[1,0,0]
	v_pk_mul_f32 v[66:67], v[22:23], v[218:219] op_sel:[0,1]
	v_mov_b32_e32 v31, v41
	v_pk_fma_f32 v[40:41], v[22:23], v[218:219], v[66:67] op_sel:[0,0,1] op_sel_hi:[1,1,0] neg_lo:[0,0,1] neg_hi:[0,0,1]
	v_pk_fma_f32 v[22:23], v[22:23], v[218:219], v[66:67] op_sel:[0,0,1] op_sel_hi:[1,0,0]
	v_mov_b32_e32 v18, v221
	v_mov_b32_e32 v41, v23
	v_pk_mul_f32 v[22:23], v[36:37], v[18:19] op_sel_hi:[1,0]
	v_pk_add_f32 v[184:185], v[34:35], v[30:31]
	v_pk_fma_f32 v[66:67], v[36:37], v[220:221], v[22:23] op_sel:[0,0,1] op_sel_hi:[1,1,0] neg_lo:[0,0,1] neg_hi:[0,0,1]
	v_pk_fma_f32 v[22:23], v[36:37], v[220:221], v[22:23] op_sel:[0,0,1] op_sel_hi:[1,0,0]
	v_pk_fma_f32 v[184:185], v[184:185], 0.5, v[8:9] op_sel_hi:[1,0,1] neg_lo:[1,0,0] neg_hi:[1,0,0]
	v_mov_b32_e32 v67, v23
	v_pk_mul_f32 v[22:23], v[12:13], v[16:17] op_sel:[0,1]
	v_pk_add_f32 v[186:187], v[2:3], v[66:67] neg_lo:[0,1] neg_hi:[0,1]
	v_pk_fma_f32 v[36:37], v[12:13], v[16:17], v[22:23] op_sel:[0,0,1] op_sel_hi:[1,1,0] neg_lo:[0,0,1] neg_hi:[0,0,1]
	v_pk_fma_f32 v[12:13], v[12:13], v[16:17], v[22:23] op_sel:[0,0,1] op_sel_hi:[1,0,0]
	v_pk_mul_f32 v[192:193], v[186:187], s[8:9] op_sel_hi:[1,0]
	v_pk_add_f32 v[194:195], v[34:35], v[30:31] neg_lo:[0,1] neg_hi:[0,1]
	v_pk_add_f32 v[198:199], v[2:3], v[34:35] neg_lo:[0,1] neg_hi:[0,1]
	;; [unrolled: 1-line block ×3, first 2 shown]
	v_mov_b32_e32 v37, v13
	v_pk_mul_f32 v[196:197], v[194:195], s[2:3] op_sel_hi:[1,0]
	v_pk_add_f32 v[198:199], v[198:199], v[200:201]
	v_pk_add_f32 v[200:201], v[184:185], v[192:193] op_sel:[0,1] op_sel_hi:[1,0]
	v_pk_add_f32 v[184:185], v[184:185], v[192:193] op_sel:[0,1] op_sel_hi:[1,0] neg_lo:[0,1] neg_hi:[0,1]
	v_pk_add_f32 v[192:193], v[200:201], v[196:197] op_sel:[0,1] op_sel_hi:[1,0]
	v_pk_add_f32 v[200:201], v[60:61], v[40:41]
	v_pk_add_f32 v[202:203], v[6:7], v[36:37] neg_lo:[0,1] neg_hi:[0,1]
	v_pk_fma_f32 v[200:201], v[200:201], 0.5, v[0:1] op_sel_hi:[1,0,1] neg_lo:[1,0,0] neg_hi:[1,0,0]
	v_pk_mul_f32 v[204:205], v[202:203], s[8:9] op_sel_hi:[1,0]
	v_pk_add_f32 v[206:207], v[60:61], v[40:41] neg_lo:[0,1] neg_hi:[0,1]
	v_pk_add_f32 v[210:211], v[6:7], v[60:61] neg_lo:[0,1] neg_hi:[0,1]
	;; [unrolled: 1-line block ×3, first 2 shown]
	v_pk_mul_f32 v[208:209], v[206:207], s[2:3] op_sel_hi:[1,0]
	v_pk_add_f32 v[210:211], v[210:211], v[212:213]
	v_pk_add_f32 v[212:213], v[200:201], v[204:205] op_sel:[0,1] op_sel_hi:[1,0]
	v_pk_add_f32 v[200:201], v[200:201], v[204:205] op_sel:[0,1] op_sel_hi:[1,0] neg_lo:[0,1] neg_hi:[0,1]
	v_pk_add_f32 v[204:205], v[212:213], v[208:209] op_sel:[0,1] op_sel_hi:[1,0]
	v_pk_add_f32 v[200:201], v[200:201], v[208:209] op_sel:[0,1] op_sel_hi:[1,0] neg_lo:[0,1] neg_hi:[0,1]
	v_mov_b32_e32 v208, v204
	v_mov_b32_e32 v209, v201
	v_pk_add_f32 v[12:13], v[8:9], v[2:3]
	v_pk_add_f32 v[22:23], v[0:1], v[6:7]
	v_pk_fma_f32 v[208:209], v[210:211], s[4:5], v[208:209] op_sel_hi:[1,0,1]
	v_pk_add_f32 v[12:13], v[12:13], v[34:35]
	v_pk_add_f32 v[22:23], v[22:23], v[60:61]
	v_pk_add_f32 v[184:185], v[184:185], v[196:197] op_sel:[0,1] op_sel_hi:[1,0] neg_lo:[0,1] neg_hi:[0,1]
	v_pk_mul_f32 v[212:213], v[208:209], s[2:3] op_sel_hi:[1,0]
	v_pk_add_f32 v[12:13], v[12:13], v[30:31]
	v_pk_add_f32 v[22:23], v[22:23], v[40:41]
	v_mov_b32_e32 v196, v192
	v_mov_b32_e32 v197, v185
	v_pk_fma_f32 v[214:215], v[208:209], s[10:11], v[212:213] op_sel:[0,0,1] op_sel_hi:[1,0,0]
	v_pk_fma_f32 v[208:209], v[208:209], s[10:11], v[212:213] op_sel:[0,0,1] op_sel_hi:[1,0,0] neg_lo:[0,0,1] neg_hi:[0,0,1]
	v_pk_add_f32 v[12:13], v[12:13], v[66:67]
	v_pk_add_f32 v[22:23], v[22:23], v[36:37]
	v_pk_fma_f32 v[196:197], v[198:199], s[4:5], v[196:197] op_sel_hi:[1,0,1]
	v_mov_b32_e32 v215, v209
	v_pk_add_f32 v[182:183], v[12:13], v[22:23]
	v_pk_add_f32 v[208:209], v[196:197], v[214:215]
	ds_write2_b64 v251, v[182:183], v[208:209] offset1:30
	v_pk_add_f32 v[182:183], v[2:3], v[66:67]
	v_pk_add_f32 v[2:3], v[34:35], v[2:3] neg_lo:[0,1] neg_hi:[0,1]
	v_pk_add_f32 v[30:31], v[30:31], v[66:67] neg_lo:[0,1] neg_hi:[0,1]
	v_pk_fma_f32 v[8:9], v[182:183], 0.5, v[8:9] op_sel_hi:[1,0,1] neg_lo:[1,0,0] neg_hi:[1,0,0]
	v_pk_add_f32 v[2:3], v[2:3], v[30:31]
	v_pk_add_f32 v[30:31], v[6:7], v[36:37]
	v_pk_add_f32 v[6:7], v[60:61], v[6:7] neg_lo:[0,1] neg_hi:[0,1]
	v_pk_fma_f32 v[0:1], v[30:31], 0.5, v[0:1] op_sel_hi:[1,0,1] neg_lo:[1,0,0] neg_hi:[1,0,0]
	v_pk_add_f32 v[30:31], v[40:41], v[36:37] neg_lo:[0,1] neg_hi:[0,1]
	v_pk_mul_f32 v[34:35], v[186:187], s[2:3] op_sel_hi:[1,0]
	v_pk_add_f32 v[6:7], v[6:7], v[30:31]
	v_pk_mul_f32 v[30:31], v[194:195], s[8:9] op_sel_hi:[1,0]
	v_pk_mul_f32 v[40:41], v[202:203], s[2:3] op_sel_hi:[1,0]
	v_pk_add_f32 v[36:37], v[8:9], v[30:31] op_sel:[0,1] op_sel_hi:[1,0] neg_lo:[0,1] neg_hi:[0,1]
	v_pk_add_f32 v[8:9], v[8:9], v[30:31] op_sel:[0,1] op_sel_hi:[1,0]
	v_pk_add_f32 v[30:31], v[36:37], v[34:35] op_sel:[0,1] op_sel_hi:[1,0]
	v_pk_mul_f32 v[36:37], v[206:207], s[8:9] op_sel_hi:[1,0]
	v_pk_add_f32 v[8:9], v[8:9], v[34:35] op_sel:[0,1] op_sel_hi:[1,0] neg_lo:[0,1] neg_hi:[0,1]
	v_pk_add_f32 v[60:61], v[0:1], v[36:37] op_sel:[0,1] op_sel_hi:[1,0] neg_lo:[0,1] neg_hi:[0,1]
	v_pk_add_f32 v[0:1], v[0:1], v[36:37] op_sel:[0,1] op_sel_hi:[1,0]
	v_pk_add_f32 v[36:37], v[60:61], v[40:41] op_sel:[0,1] op_sel_hi:[1,0]
	v_pk_add_f32 v[0:1], v[0:1], v[40:41] op_sel:[0,1] op_sel_hi:[1,0] neg_lo:[0,1] neg_hi:[0,1]
	v_mov_b32_e32 v40, v36
	v_mov_b32_e32 v41, v1
	v_pk_fma_f32 v[40:41], v[6:7], s[4:5], v[40:41] op_sel_hi:[1,0,1]
	v_mov_b32_e32 v1, v37
	v_pk_mul_f32 v[60:61], v[40:41], s[8:9] op_sel_hi:[1,0]
	v_pk_fma_f32 v[0:1], v[6:7], s[4:5], v[0:1] op_sel_hi:[1,0,1]
	v_mov_b32_e32 v34, v30
	v_mov_b32_e32 v35, v9
	v_pk_fma_f32 v[66:67], v[40:41], s[4:5], v[60:61] op_sel:[0,0,1] op_sel_hi:[1,0,0]
	v_pk_fma_f32 v[40:41], v[40:41], s[4:5], v[60:61] op_sel:[0,0,1] op_sel_hi:[1,0,0] neg_lo:[0,0,1] neg_hi:[0,0,1]
	v_mov_b32_e32 v9, v31
	v_pk_mul_f32 v[6:7], v[0:1], s[4:5] op_sel_hi:[1,0]
	v_mov_b32_e32 v201, v205
	v_pk_fma_f32 v[34:35], v[2:3], s[4:5], v[34:35] op_sel_hi:[1,0,1]
	v_mov_b32_e32 v67, v41
	v_pk_fma_f32 v[2:3], v[2:3], s[4:5], v[8:9] op_sel_hi:[1,0,1]
	v_pk_fma_f32 v[0:1], v[0:1], s[16:17], v[6:7] op_sel:[0,0,1] op_sel_hi:[1,1,0] neg_lo:[0,0,1] neg_hi:[0,0,1]
	v_pk_fma_f32 v[8:9], v[210:211], s[4:5], v[200:201] op_sel_hi:[1,0,1]
	v_pk_add_f32 v[40:41], v[34:35], v[66:67]
	v_pk_add_f32 v[6:7], v[2:3], v[0:1] op_sel:[0,1] op_sel_hi:[1,0]
	v_mov_b32_e32 v185, v193
	v_pk_mul_f32 v[30:31], v[8:9], s[10:11] op_sel_hi:[1,0]
	ds_write2_b64 v251, v[40:41], v[6:7] offset0:60 offset1:90
	v_pk_fma_f32 v[6:7], v[198:199], s[4:5], v[184:185] op_sel_hi:[1,0,1]
	v_pk_fma_f32 v[8:9], v[8:9], s[14:15], v[30:31] op_sel:[0,0,1] op_sel_hi:[1,1,0] neg_lo:[0,0,1] neg_hi:[0,0,1]
	v_pk_add_f32 v[12:13], v[12:13], v[22:23] neg_lo:[0,1] neg_hi:[0,1]
	v_pk_add_f32 v[30:31], v[6:7], v[8:9] op_sel:[0,1] op_sel_hi:[1,0]
	v_pk_add_f32 v[0:1], v[2:3], v[0:1] op_sel:[0,1] op_sel_hi:[1,0] neg_lo:[0,1] neg_hi:[0,1]
	v_pk_add_f32 v[2:3], v[6:7], v[8:9] op_sel:[0,1] op_sel_hi:[1,0] neg_lo:[0,1] neg_hi:[0,1]
	ds_write2_b64 v251, v[30:31], v[12:13] offset0:120 offset1:150
	v_pk_add_f32 v[12:13], v[196:197], v[214:215] neg_lo:[0,1] neg_hi:[0,1]
	v_pk_add_f32 v[22:23], v[34:35], v[66:67] neg_lo:[0,1] neg_hi:[0,1]
	ds_write2_b64 v107, v[0:1], v[2:3] offset0:112 offset1:142
	v_pk_add_f32 v[0:1], v[140:141], v[136:137]
	v_pk_add_f32 v[2:3], v[144:145], v[70:71] neg_lo:[0,1] neg_hi:[0,1]
	ds_write2_b64 v251, v[12:13], v[22:23] offset0:180 offset1:210
	v_pk_fma_f32 v[0:1], v[0:1], 0.5, v[10:11] op_sel_hi:[1,0,1] neg_lo:[1,0,0] neg_hi:[1,0,0]
	v_pk_mul_f32 v[6:7], v[2:3], s[8:9] op_sel_hi:[1,0]
	v_pk_add_f32 v[8:9], v[140:141], v[136:137] neg_lo:[0,1] neg_hi:[0,1]
	v_pk_add_f32 v[22:23], v[144:145], v[140:141] neg_lo:[0,1] neg_hi:[0,1]
	v_pk_add_f32 v[30:31], v[70:71], v[136:137] neg_lo:[0,1] neg_hi:[0,1]
	v_pk_mul_f32 v[12:13], v[8:9], s[2:3] op_sel_hi:[1,0]
	v_pk_add_f32 v[22:23], v[22:23], v[30:31]
	v_pk_add_f32 v[30:31], v[0:1], v[6:7] op_sel:[0,1] op_sel_hi:[1,0]
	v_pk_add_f32 v[0:1], v[0:1], v[6:7] op_sel:[0,1] op_sel_hi:[1,0] neg_lo:[0,1] neg_hi:[0,1]
	v_pk_add_f32 v[6:7], v[30:31], v[12:13] op_sel:[0,1] op_sel_hi:[1,0]
	v_pk_add_f32 v[30:31], v[62:63], v[178:179]
	v_pk_add_f32 v[34:35], v[68:69], v[180:181] neg_lo:[0,1] neg_hi:[0,1]
	v_pk_fma_f32 v[30:31], v[30:31], 0.5, v[176:177] op_sel_hi:[1,0,1] neg_lo:[1,0,0] neg_hi:[1,0,0]
	v_pk_mul_f32 v[36:37], v[34:35], s[8:9] op_sel_hi:[1,0]
	v_pk_add_f32 v[40:41], v[62:63], v[178:179] neg_lo:[0,1] neg_hi:[0,1]
	v_pk_add_f32 v[66:67], v[68:69], v[62:63] neg_lo:[0,1] neg_hi:[0,1]
	;; [unrolled: 1-line block ×3, first 2 shown]
	v_pk_mul_f32 v[60:61], v[40:41], s[2:3] op_sel_hi:[1,0]
	v_pk_add_f32 v[66:67], v[66:67], v[182:183]
	v_pk_add_f32 v[182:183], v[30:31], v[36:37] op_sel:[0,1] op_sel_hi:[1,0]
	v_pk_add_f32 v[30:31], v[30:31], v[36:37] op_sel:[0,1] op_sel_hi:[1,0] neg_lo:[0,1] neg_hi:[0,1]
	v_pk_add_f32 v[36:37], v[182:183], v[60:61] op_sel:[0,1] op_sel_hi:[1,0]
	v_pk_add_f32 v[30:31], v[30:31], v[60:61] op_sel:[0,1] op_sel_hi:[1,0] neg_lo:[0,1] neg_hi:[0,1]
	v_mov_b32_e32 v60, v36
	v_mov_b32_e32 v61, v31
	v_pk_fma_f32 v[60:61], v[66:67], s[4:5], v[60:61] op_sel_hi:[1,0,1]
	v_pk_add_f32 v[0:1], v[0:1], v[12:13] op_sel:[0,1] op_sel_hi:[1,0] neg_lo:[0,1] neg_hi:[0,1]
	v_pk_mul_f32 v[182:183], v[60:61], s[2:3] op_sel_hi:[1,0]
	v_mov_b32_e32 v12, v6
	v_mov_b32_e32 v13, v1
	v_pk_fma_f32 v[184:185], v[60:61], s[10:11], v[182:183] op_sel:[0,0,1] op_sel_hi:[1,0,0]
	v_pk_fma_f32 v[60:61], v[60:61], s[10:11], v[182:183] op_sel:[0,0,1] op_sel_hi:[1,0,0] neg_lo:[0,0,1] neg_hi:[0,0,1]
	v_pk_fma_f32 v[12:13], v[22:23], s[4:5], v[12:13] op_sel_hi:[1,0,1]
	v_mov_b32_e32 v185, v61
	v_pk_add_f32 v[60:61], v[12:13], v[184:185]
	ds_write2_b64 v245, v[64:65], v[60:61] offset1:30
	v_pk_add_f32 v[60:61], v[144:145], v[70:71]
	v_pk_add_f32 v[64:65], v[136:137], v[70:71] neg_lo:[0,1] neg_hi:[0,1]
	v_pk_fma_f32 v[10:11], v[60:61], 0.5, v[10:11] op_sel_hi:[1,0,1] neg_lo:[1,0,0] neg_hi:[1,0,0]
	v_pk_add_f32 v[60:61], v[140:141], v[144:145] neg_lo:[0,1] neg_hi:[0,1]
	v_pk_add_f32 v[62:63], v[62:63], v[68:69] neg_lo:[0,1] neg_hi:[0,1]
	v_pk_add_f32 v[60:61], v[60:61], v[64:65]
	v_pk_add_f32 v[64:65], v[68:69], v[180:181]
	v_pk_add_f32 v[68:69], v[178:179], v[180:181] neg_lo:[0,1] neg_hi:[0,1]
	v_pk_mul_f32 v[8:9], v[8:9], s[8:9] op_sel_hi:[1,0]
	v_pk_fma_f32 v[64:65], v[64:65], 0.5, v[176:177] op_sel_hi:[1,0,1] neg_lo:[1,0,0] neg_hi:[1,0,0]
	v_pk_add_f32 v[62:63], v[62:63], v[68:69]
	v_pk_mul_f32 v[2:3], v[2:3], s[2:3] op_sel_hi:[1,0]
	v_pk_add_f32 v[68:69], v[10:11], v[8:9] op_sel:[0,1] op_sel_hi:[1,0] neg_lo:[0,1] neg_hi:[0,1]
	v_pk_add_f32 v[8:9], v[10:11], v[8:9] op_sel:[0,1] op_sel_hi:[1,0]
	v_pk_mul_f32 v[40:41], v[40:41], s[8:9] op_sel_hi:[1,0]
	v_pk_add_f32 v[8:9], v[8:9], v[2:3] op_sel:[0,1] op_sel_hi:[1,0] neg_lo:[0,1] neg_hi:[0,1]
	v_pk_add_f32 v[2:3], v[68:69], v[2:3] op_sel:[0,1] op_sel_hi:[1,0]
	;; [unrolled: 3-line block ×3, first 2 shown]
	v_mov_b32_e32 v11, v9
	v_pk_add_f32 v[40:41], v[40:41], v[34:35] op_sel:[0,1] op_sel_hi:[1,0] neg_lo:[0,1] neg_hi:[0,1]
	v_pk_add_f32 v[34:35], v[68:69], v[34:35] op_sel:[0,1] op_sel_hi:[1,0]
	v_mov_b32_e32 v65, v41
	v_mov_b32_e32 v9, v3
	;; [unrolled: 1-line block ×5, first 2 shown]
	v_pk_fma_f32 v[2:3], v[60:61], s[4:5], v[8:9] op_sel_hi:[1,0,1]
	v_pk_fma_f32 v[8:9], v[62:63], s[4:5], v[40:41] op_sel_hi:[1,0,1]
	v_mov_b32_e32 v1, v7
	v_pk_fma_f32 v[6:7], v[66:67], s[4:5], v[30:31] op_sel_hi:[1,0,1]
	v_mov_b32_e32 v64, v34
	v_pk_mul_f32 v[34:35], v[8:9], s[4:5] op_sel_hi:[1,0]
	v_pk_fma_f32 v[0:1], v[22:23], s[4:5], v[0:1] op_sel_hi:[1,0,1]
	v_pk_mul_f32 v[22:23], v[6:7], s[10:11] op_sel_hi:[1,0]
	v_pk_fma_f32 v[8:9], v[8:9], s[16:17], v[34:35] op_sel:[0,0,1] op_sel_hi:[1,1,0] neg_lo:[0,0,1] neg_hi:[0,0,1]
	v_pk_fma_f32 v[6:7], v[6:7], s[14:15], v[22:23] op_sel:[0,0,1] op_sel_hi:[1,1,0] neg_lo:[0,0,1] neg_hi:[0,0,1]
	v_pk_add_f32 v[34:35], v[2:3], v[8:9] op_sel:[0,1] op_sel_hi:[1,0]
	v_pk_add_f32 v[22:23], v[0:1], v[6:7] op_sel:[0,1] op_sel_hi:[1,0]
	v_pk_add_f32 v[2:3], v[2:3], v[8:9] op_sel:[0,1] op_sel_hi:[1,0] neg_lo:[0,1] neg_hi:[0,1]
	v_pk_add_f32 v[0:1], v[0:1], v[6:7] op_sel:[0,1] op_sel_hi:[1,0] neg_lo:[0,1] neg_hi:[0,1]
	v_add_u32_e32 v6, 0x400, v245
	v_pk_fma_f32 v[64:65], v[62:63], s[4:5], v[64:65] op_sel_hi:[1,0,1]
	ds_write2_b64 v6, v[2:3], v[0:1] offset0:112 offset1:142
	v_accvgpr_write_b32 a70, v6
	v_pk_add_f32 v[2:3], v[4:5], v[146:147]
	v_pk_add_f32 v[6:7], v[74:75], v[32:33]
	v_pk_mul_f32 v[68:69], v[64:65], s[8:9] op_sel_hi:[1,0]
	v_pk_add_f32 v[2:3], v[2:3], v[142:143]
	v_pk_add_f32 v[6:7], v[6:7], v[28:29]
	v_pk_fma_f32 v[70:71], v[64:65], s[4:5], v[68:69] op_sel:[0,0,1] op_sel_hi:[1,0,0]
	v_pk_fma_f32 v[64:65], v[64:65], s[4:5], v[68:69] op_sel:[0,0,1] op_sel_hi:[1,0,0] neg_lo:[0,0,1] neg_hi:[0,0,1]
	v_pk_add_f32 v[2:3], v[2:3], v[148:149]
	v_pk_add_f32 v[6:7], v[6:7], v[138:139]
	v_pk_fma_f32 v[10:11], v[60:61], s[4:5], v[10:11] op_sel_hi:[1,0,1]
	v_mov_b32_e32 v71, v65
	v_pk_add_f32 v[2:3], v[2:3], v[150:151]
	v_pk_add_f32 v[6:7], v[6:7], v[72:73]
	;; [unrolled: 1-line block ×3, first 2 shown]
	v_pk_add_f32 v[30:31], v[38:39], v[42:43] neg_lo:[0,1] neg_hi:[0,1]
	v_pk_add_f32 v[12:13], v[12:13], v[184:185] neg_lo:[0,1] neg_hi:[0,1]
	;; [unrolled: 1-line block ×3, first 2 shown]
	v_pk_add_f32 v[0:1], v[172:173], v[174:175]
	v_pk_add_f32 v[8:9], v[2:3], v[6:7] op_sel:[0,1] op_sel_hi:[1,0] neg_lo:[0,1] neg_hi:[0,1]
	v_pk_add_f32 v[2:3], v[2:3], v[6:7] op_sel:[0,1] op_sel_hi:[1,0]
	v_pk_fma_f32 v[6:7], v[166:167], s[4:5], v[168:169] op_sel_hi:[1,0,1]
	ds_write2_b64 v245, v[64:65], v[34:35] offset0:60 offset1:90
	ds_write2_b64 v245, v[22:23], v[30:31] offset0:120 offset1:150
	;; [unrolled: 1-line block ×4, first 2 shown]
	v_pk_mul_f32 v[8:9], v[6:7], s[2:3] op_sel_hi:[1,0]
	v_pk_fma_f32 v[0:1], v[160:161], s[4:5], v[162:163] op_sel_hi:[1,0,1]
	v_pk_fma_f32 v[10:11], v[6:7], s[10:11], v[8:9] op_sel:[0,0,1] op_sel_hi:[1,0,0]
	v_pk_fma_f32 v[6:7], v[6:7], s[10:11], v[8:9] op_sel:[0,0,1] op_sel_hi:[1,0,0] neg_lo:[0,0,1] neg_hi:[0,0,1]
	v_mov_b32_e32 v8, v11
	v_mov_b32_e32 v9, v6
	v_pk_add_f32 v[6:7], v[0:1], v[8:9] neg_lo:[0,1] neg_hi:[0,1]
	v_pk_add_f32 v[0:1], v[0:1], v[8:9]
	ds_write2_b64 v225, v[2:3], v[0:1] offset1:30
	v_pk_add_f32 v[0:1], v[146:147], v[150:151]
	v_pk_add_f32 v[10:11], v[32:33], v[72:73]
	v_pk_fma_f32 v[0:1], v[0:1], 0.5, v[4:5] op_sel_hi:[1,0,1] neg_lo:[1,0,0] neg_hi:[1,0,0]
	v_pk_add_f32 v[2:3], v[142:143], v[146:147] neg_lo:[0,1] neg_hi:[0,1]
	v_pk_add_f32 v[4:5], v[148:149], v[150:151] neg_lo:[0,1] neg_hi:[0,1]
	v_pk_fma_f32 v[10:11], v[10:11], 0.5, v[74:75] op_sel_hi:[1,0,1] neg_lo:[1,0,0] neg_hi:[1,0,0]
	v_pk_add_f32 v[12:13], v[28:29], v[32:33] neg_lo:[0,1] neg_hi:[0,1]
	v_pk_add_f32 v[22:23], v[138:139], v[72:73] neg_lo:[0,1] neg_hi:[0,1]
	v_pk_add_f32 v[2:3], v[2:3], v[4:5]
	v_pk_fma_f32 v[4:5], v[158:159], s[8:9], v[0:1] op_sel:[1,0,0] op_sel_hi:[0,0,1]
	v_pk_fma_f32 v[0:1], v[158:159], s[8:9], v[0:1] op_sel:[1,0,0] op_sel_hi:[0,0,1] neg_lo:[1,0,0] neg_hi:[1,0,0]
	v_pk_add_f32 v[12:13], v[12:13], v[22:23]
	v_pk_fma_f32 v[22:23], v[154:155], s[8:9], v[10:11] op_sel:[1,0,0] op_sel_hi:[0,0,1] neg_lo:[1,0,0] neg_hi:[1,0,0]
	v_pk_fma_f32 v[10:11], v[154:155], s[8:9], v[10:11] op_sel:[1,0,0] op_sel_hi:[0,0,1]
	v_pk_fma_f32 v[0:1], v[156:157], s[2:3], v[0:1] op_sel:[1,0,0] op_sel_hi:[0,0,1]
	v_pk_fma_f32 v[4:5], v[156:157], s[2:3], v[4:5] op_sel:[1,0,0] op_sel_hi:[0,0,1] neg_lo:[1,0,0] neg_hi:[1,0,0]
	v_pk_fma_f32 v[10:11], v[152:153], s[2:3], v[10:11] op_sel:[1,0,0] op_sel_hi:[0,0,1] neg_lo:[1,0,0] neg_hi:[1,0,0]
	v_pk_fma_f32 v[22:23], v[152:153], s[2:3], v[22:23] op_sel:[1,0,0] op_sel_hi:[0,0,1]
	v_mov_b32_e32 v8, v4
	v_mov_b32_e32 v9, v1
	;; [unrolled: 1-line block ×5, first 2 shown]
	v_pk_fma_f32 v[8:9], v[2:3], s[4:5], v[8:9] op_sel_hi:[1,0,1]
	v_mov_b32_e32 v28, v22
	s_mov_b32 s9, s16
	v_pk_fma_f32 v[0:1], v[2:3], s[4:5], v[0:1] op_sel_hi:[1,0,1]
	v_pk_fma_f32 v[2:3], v[12:13], s[4:5], v[10:11] op_sel_hi:[1,0,1]
	;; [unrolled: 1-line block ×3, first 2 shown]
	v_pk_mul_f32 v[4:5], v[2:3], s[8:9] op_sel_hi:[1,0]
	v_pk_mul_f32 v[30:31], v[28:29], s[4:5] op_sel_hi:[1,0]
	v_pk_fma_f32 v[10:11], v[2:3], s[4:5], v[4:5] op_sel:[0,0,1] op_sel_hi:[1,0,0]
	v_pk_fma_f32 v[2:3], v[2:3], s[4:5], v[4:5] op_sel:[0,0,1] op_sel_hi:[1,0,0] neg_lo:[0,0,1] neg_hi:[0,0,1]
	v_pk_fma_f32 v[28:29], v[28:29], s[8:9], v[30:31] op_sel:[0,0,1] op_sel_hi:[1,1,0] neg_lo:[0,0,1] neg_hi:[0,0,1]
	v_mov_b32_e32 v4, v11
	v_mov_b32_e32 v5, v2
	v_pk_add_f32 v[30:31], v[8:9], v[28:29] neg_lo:[0,1] neg_hi:[0,1]
	v_pk_add_f32 v[8:9], v[8:9], v[28:29]
	v_pk_add_f32 v[2:3], v[0:1], v[4:5] neg_lo:[0,1] neg_hi:[0,1]
	v_pk_add_f32 v[0:1], v[0:1], v[4:5]
	ds_write2_b64 v225, v[0:1], v[8:9] offset0:60 offset1:90
	ds_write2_b64 v225, v[6:7], v[2:3] offset0:180 offset1:210
	v_add_u32_e32 v0, 0x400, v225
	ds_write2_b64 v0, v[30:31], v[20:21] offset0:112 offset1:142
	v_accvgpr_write_b32 a71, v0
	v_mad_u64_u32 v[0:1], s[6:7], v228, s5, v[14:15]
	s_waitcnt lgkmcnt(0)
	s_barrier
	global_load_dwordx4 v[60:63], v[0:1], off offset:2368
	global_load_dwordx4 v[64:67], v[0:1], off offset:2352
	;; [unrolled: 1-line block ×4, first 2 shown]
	global_load_dwordx2 v[6:7], v[0:1], off offset:2384
	s_mov_b64 s[6:7], 0x1c20
	v_lshl_add_u64 v[2:3], v[0:1], 0, s[6:7]
	global_load_dwordx4 v[28:31], v[2:3], off offset:2368
	global_load_dwordx4 v[32:35], v[2:3], off offset:2352
	;; [unrolled: 1-line block ×4, first 2 shown]
	global_load_dwordx2 v[4:5], v[2:3], off offset:2384
	s_mov_b64 s[6:7], 0x3840
	v_lshl_add_u64 v[0:1], v[0:1], 0, s[6:7]
	global_load_dwordx4 v[238:241], v[0:1], off offset:2368
	global_load_dwordx4 v[234:237], v[0:1], off offset:2352
	;; [unrolled: 1-line block ×4, first 2 shown]
	global_load_dwordx2 v[2:3], v[0:1], off offset:2384
	ds_read2_b64 v[140:143], v250 offset1:100
	ds_read2_b64 v[136:139], v55 offset0:72 offset1:172
	ds_read2_b64 v[184:187], v83 offset0:88 offset1:188
	;; [unrolled: 1-line block ×9, first 2 shown]
	v_mov_b32_e32 v91, v217
	v_mov_b32_e32 v87, v216
	s_mov_b64 s[6:7], 0x5dc0
	v_mov_b32_e32 v221, v103
	v_mov_b32_e32 v83, v123
	s_waitcnt vmcnt(14)
	v_accvgpr_write_b32 a82, v63
	s_waitcnt vmcnt(11) lgkmcnt(8)
	v_pk_mul_f32 v[0:1], v[138:139], v[72:73] op_sel:[0,1]
	s_nop 0
	v_pk_fma_f32 v[192:193], v[138:139], v[72:73], v[0:1] op_sel:[0,0,1] op_sel_hi:[1,1,0] neg_lo:[0,0,1] neg_hi:[0,0,1]
	v_pk_fma_f32 v[0:1], v[138:139], v[72:73], v[0:1] op_sel:[0,0,1] op_sel_hi:[1,0,0]
	v_mov_b32_e32 v8, v75
	v_mov_b32_e32 v193, v1
	s_waitcnt lgkmcnt(7)
	v_pk_mul_f32 v[0:1], v[184:185], v[8:9] op_sel_hi:[1,0]
	v_mov_b32_e32 v8, v71
	v_pk_fma_f32 v[206:207], v[184:185], v[74:75], v[0:1] op_sel:[0,0,1] op_sel_hi:[1,1,0] neg_lo:[0,0,1] neg_hi:[0,0,1]
	v_pk_fma_f32 v[0:1], v[184:185], v[74:75], v[0:1] op_sel:[0,0,1] op_sel_hi:[1,0,0]
	s_waitcnt vmcnt(10)
	v_accvgpr_write_b32 a81, v7
	v_mov_b32_e32 v207, v1
	s_waitcnt lgkmcnt(6)
	v_pk_mul_f32 v[0:1], v[158:159], v[68:69] op_sel:[0,1]
	v_accvgpr_write_b32 a80, v6
	v_pk_fma_f32 v[202:203], v[158:159], v[68:69], v[0:1] op_sel:[0,0,1] op_sel_hi:[1,1,0] neg_lo:[0,0,1] neg_hi:[0,0,1]
	v_pk_fma_f32 v[0:1], v[158:159], v[68:69], v[0:1] op_sel:[0,0,1] op_sel_hi:[1,0,0]
	s_waitcnt vmcnt(0)
	v_accvgpr_write_b32 a95, v3
	v_mov_b32_e32 v203, v1
	s_waitcnt lgkmcnt(5)
	v_pk_mul_f32 v[0:1], v[180:181], v[8:9] op_sel_hi:[1,0]
	v_mov_b32_e32 v8, v67
	v_pk_fma_f32 v[210:211], v[180:181], v[70:71], v[0:1] op_sel:[0,0,1] op_sel_hi:[1,1,0] neg_lo:[0,0,1] neg_hi:[0,0,1]
	v_pk_fma_f32 v[0:1], v[180:181], v[70:71], v[0:1] op_sel:[0,0,1] op_sel_hi:[1,0,0]
	v_accvgpr_write_b32 a94, v2
	v_mov_b32_e32 v211, v1
	s_waitcnt lgkmcnt(4)
	v_pk_mul_f32 v[0:1], v[154:155], v[64:65] op_sel:[0,1]
	v_pk_add_f32 v[254:255], v[206:207], v[210:211] neg_lo:[0,1] neg_hi:[0,1]
	v_pk_fma_f32 v[204:205], v[154:155], v[64:65], v[0:1] op_sel:[0,0,1] op_sel_hi:[1,1,0] neg_lo:[0,0,1] neg_hi:[0,0,1]
	v_pk_fma_f32 v[0:1], v[154:155], v[64:65], v[0:1] op_sel:[0,0,1] op_sel_hi:[1,0,0]
	v_accvgpr_write_b32 a98, v237
	v_mov_b32_e32 v205, v1
	s_waitcnt lgkmcnt(3)
	v_pk_mul_f32 v[0:1], v[174:175], v[8:9] op_sel_hi:[1,0]
	v_mov_b32_e32 v8, v63
	v_pk_fma_f32 v[214:215], v[174:175], v[66:67], v[0:1] op_sel:[0,0,1] op_sel_hi:[1,1,0] neg_lo:[0,0,1] neg_hi:[0,0,1]
	v_pk_fma_f32 v[0:1], v[174:175], v[66:67], v[0:1] op_sel:[0,0,1] op_sel_hi:[1,0,0]
	v_pk_add_f32 v[14:15], v[202:203], v[204:205] neg_lo:[0,1] neg_hi:[0,1]
	v_mov_b32_e32 v215, v1
	s_waitcnt lgkmcnt(2)
	v_pk_mul_f32 v[0:1], v[150:151], v[60:61] op_sel:[0,1]
	v_accvgpr_write_b32 a90, v23
	v_pk_fma_f32 v[208:209], v[150:151], v[60:61], v[0:1] op_sel:[0,0,1] op_sel_hi:[1,1,0] neg_lo:[0,0,1] neg_hi:[0,0,1]
	v_pk_fma_f32 v[0:1], v[150:151], v[60:61], v[0:1] op_sel:[0,0,1] op_sel_hi:[1,0,0]
	v_accvgpr_write_b32 a84, v39
	v_mov_b32_e32 v209, v1
	s_waitcnt lgkmcnt(1)
	v_pk_mul_f32 v[0:1], v[168:169], v[8:9] op_sel_hi:[1,0]
	v_pk_add_f32 v[10:11], v[204:205], v[208:209] neg_lo:[0,1] neg_hi:[0,1]
	v_pk_fma_f32 v[216:217], v[168:169], v[62:63], v[0:1] op_sel:[0,0,1] op_sel_hi:[1,1,0] neg_lo:[0,0,1] neg_hi:[0,0,1]
	v_pk_fma_f32 v[0:1], v[168:169], v[62:63], v[0:1] op_sel:[0,0,1] op_sel_hi:[1,0,0]
	ds_read2_b64 v[178:181], v103 offset0:144 offset1:244
	ds_read2_b64 v[172:175], v99 offset0:104 offset1:204
	;; [unrolled: 1-line block ×5, first 2 shown]
	v_mov_b32_e32 v217, v1
	s_waitcnt lgkmcnt(5)
	v_pk_mul_f32 v[0:1], v[146:147], v[6:7] op_sel:[0,1]
	s_waitcnt lgkmcnt(3)
	v_pk_mul_f32 v[154:155], v[174:175], v[230:231] op_sel:[0,1]
	v_pk_fma_f32 v[212:213], v[146:147], v[6:7], v[0:1] op_sel:[0,0,1] op_sel_hi:[1,1,0] neg_lo:[0,0,1] neg_hi:[0,0,1]
	v_pk_fma_f32 v[0:1], v[146:147], v[6:7], v[0:1] op_sel:[0,0,1] op_sel_hi:[1,0,0]
	v_mov_b32_e32 v6, v43
	v_mov_b32_e32 v213, v1
	v_pk_add_f32 v[0:1], v[140:141], v[206:207]
	v_pk_mul_f32 v[146:147], v[180:181], v[20:21] op_sel:[0,1]
	v_pk_add_f32 v[0:1], v[0:1], v[210:211]
	v_pk_fma_f32 v[138:139], v[180:181], v[20:21], v[146:147] op_sel:[0,0,1] op_sel_hi:[1,1,0] neg_lo:[0,0,1] neg_hi:[0,0,1]
	v_pk_add_f32 v[0:1], v[0:1], v[214:215]
	v_pk_fma_f32 v[146:147], v[180:181], v[20:21], v[146:147] op_sel:[0,0,1] op_sel_hi:[1,0,0]
	v_pk_add_f32 v[196:197], v[0:1], v[216:217]
	v_pk_add_f32 v[0:1], v[192:193], v[202:203]
	v_mov_b32_e32 v139, v147
	v_pk_add_f32 v[0:1], v[0:1], v[204:205]
	v_pk_add_f32 v[248:249], v[216:217], v[214:215] neg_lo:[0,1] neg_hi:[0,1]
	v_pk_add_f32 v[0:1], v[0:1], v[208:209]
	v_pk_add_f32 v[248:249], v[254:255], v[248:249]
	;; [unrolled: 1-line block ×3, first 2 shown]
	v_pk_mul_f32 v[0:1], v[178:179], v[40:41] op_sel:[0,1]
	v_pk_add_f32 v[12:13], v[202:203], v[212:213] neg_lo:[0,1] neg_hi:[0,1]
	v_pk_fma_f32 v[184:185], v[178:179], v[40:41], v[0:1] op_sel:[0,0,1] op_sel_hi:[1,1,0] neg_lo:[0,0,1] neg_hi:[0,0,1]
	v_pk_fma_f32 v[0:1], v[178:179], v[40:41], v[0:1] op_sel:[0,0,1] op_sel_hi:[1,0,0]
	v_pk_add_f32 v[246:247], v[212:213], v[208:209] neg_lo:[0,1] neg_hi:[0,1]
	v_mov_b32_e32 v185, v1
	v_pk_mul_f32 v[0:1], v[186:187], v[6:7] op_sel_hi:[1,0]
	v_mov_b32_e32 v6, v39
	v_pk_fma_f32 v[200:201], v[186:187], v[42:43], v[0:1] op_sel:[0,0,1] op_sel_hi:[1,1,0] neg_lo:[0,0,1] neg_hi:[0,0,1]
	v_pk_fma_f32 v[0:1], v[186:187], v[42:43], v[0:1] op_sel:[0,0,1] op_sel_hi:[1,0,0]
	v_pk_add_f32 v[14:15], v[14:15], v[246:247]
	v_mov_b32_e32 v201, v1
	v_pk_mul_f32 v[0:1], v[172:173], v[36:37] op_sel:[0,1]
	v_pk_add_f32 v[194:195], v[196:197], v[198:199]
	v_pk_fma_f32 v[178:179], v[172:173], v[36:37], v[0:1] op_sel:[0,0,1] op_sel_hi:[1,1,0] neg_lo:[0,0,1] neg_hi:[0,0,1]
	v_pk_fma_f32 v[0:1], v[172:173], v[36:37], v[0:1] op_sel:[0,0,1] op_sel_hi:[1,0,0]
	v_accvgpr_write_b32 a100, v241
	v_mov_b32_e32 v179, v1
	v_pk_mul_f32 v[0:1], v[182:183], v[6:7] op_sel_hi:[1,0]
	v_mov_b32_e32 v6, v35
	v_pk_fma_f32 v[186:187], v[182:183], v[38:39], v[0:1] op_sel:[0,0,1] op_sel_hi:[1,1,0] neg_lo:[0,0,1] neg_hi:[0,0,1]
	v_pk_fma_f32 v[0:1], v[182:183], v[38:39], v[0:1] op_sel:[0,0,1] op_sel_hi:[1,0,0]
	v_mov_b32_e32 v39, v99
	v_mov_b32_e32 v187, v1
	s_waitcnt lgkmcnt(2)
	v_pk_mul_f32 v[0:1], v[166:167], v[32:33] op_sel:[0,1]
	v_accvgpr_write_b32 a86, v35
	v_pk_fma_f32 v[172:173], v[166:167], v[32:33], v[0:1] op_sel:[0,0,1] op_sel_hi:[1,1,0] neg_lo:[0,0,1] neg_hi:[0,0,1]
	v_pk_fma_f32 v[0:1], v[166:167], v[32:33], v[0:1] op_sel:[0,0,1] op_sel_hi:[1,0,0]
	v_accvgpr_write_b32 a72, v43
	v_mov_b32_e32 v173, v1
	v_pk_mul_f32 v[0:1], v[176:177], v[6:7] op_sel_hi:[1,0]
	v_mov_b32_e32 v6, v31
	v_pk_fma_f32 v[182:183], v[176:177], v[34:35], v[0:1] op_sel:[0,0,1] op_sel_hi:[1,1,0] neg_lo:[0,0,1] neg_hi:[0,0,1]
	v_pk_fma_f32 v[0:1], v[176:177], v[34:35], v[0:1] op_sel:[0,0,1] op_sel_hi:[1,0,0]
	v_mov_b32_e32 v35, v59
	v_mov_b32_e32 v183, v1
	s_waitcnt lgkmcnt(1)
	v_pk_mul_f32 v[0:1], v[162:163], v[28:29] op_sel:[0,1]
	v_mov_b32_e32 v43, v55
	v_pk_fma_f32 v[166:167], v[162:163], v[28:29], v[0:1] op_sel:[0,0,1] op_sel_hi:[1,1,0] neg_lo:[0,0,1] neg_hi:[0,0,1]
	v_pk_fma_f32 v[0:1], v[162:163], v[28:29], v[0:1] op_sel:[0,0,1] op_sel_hi:[1,0,0]
	v_accvgpr_write_b32 a96, v233
	v_mov_b32_e32 v167, v1
	v_pk_mul_f32 v[0:1], v[170:171], v[6:7] op_sel_hi:[1,0]
	v_accvgpr_read_b32 v63, a73
	v_pk_fma_f32 v[6:7], v[170:171], v[30:31], v[0:1] op_sel:[0,0,1] op_sel_hi:[1,1,0] neg_lo:[0,0,1] neg_hi:[0,0,1]
	v_pk_fma_f32 v[0:1], v[170:171], v[30:31], v[0:1] op_sel:[0,0,1] op_sel_hi:[1,0,0]
	v_accvgpr_write_b32 a92, v31
	v_mov_b32_e32 v7, v1
	v_mov_b64_e32 v[0:1], v[4:5]
	s_waitcnt lgkmcnt(0)
	v_pk_mul_f32 v[4:5], v[158:159], v[0:1] op_sel:[0,1]
	v_accvgpr_write_b32 a89, v1
	v_pk_fma_f32 v[8:9], v[158:159], v[0:1], v[4:5] op_sel:[0,0,1] op_sel_hi:[1,1,0] neg_lo:[0,0,1] neg_hi:[0,0,1]
	v_pk_fma_f32 v[4:5], v[158:159], v[0:1], v[4:5] op_sel:[0,0,1] op_sel_hi:[1,0,0]
	v_accvgpr_write_b32 a88, v0
	v_mov_b32_e32 v0, v23
	v_pk_mul_f32 v[150:151], v[156:157], v[0:1] op_sel_hi:[1,0]
	v_mov_b32_e32 v0, v233
	v_pk_fma_f32 v[146:147], v[156:157], v[22:23], v[150:151] op_sel:[0,0,1] op_sel_hi:[1,1,0] neg_lo:[0,0,1] neg_hi:[0,0,1]
	v_pk_fma_f32 v[150:151], v[156:157], v[22:23], v[150:151] op_sel:[0,0,1] op_sel_hi:[1,0,0]
	v_pk_mul_f32 v[156:157], v[152:153], v[0:1] op_sel_hi:[1,0]
	v_mov_b32_e32 v147, v151
	v_pk_fma_f32 v[150:151], v[174:175], v[230:231], v[154:155] op_sel:[0,0,1] op_sel_hi:[1,1,0] neg_lo:[0,0,1] neg_hi:[0,0,1]
	v_pk_fma_f32 v[154:155], v[174:175], v[230:231], v[154:155] op_sel:[0,0,1] op_sel_hi:[1,0,0]
	v_mov_b32_e32 v0, v237
	v_mov_b32_e32 v151, v155
	v_pk_fma_f32 v[154:155], v[152:153], v[232:233], v[156:157] op_sel:[0,0,1] op_sel_hi:[1,1,0] neg_lo:[0,0,1] neg_hi:[0,0,1]
	v_pk_fma_f32 v[152:153], v[152:153], v[232:233], v[156:157] op_sel:[0,0,1] op_sel_hi:[1,0,0]
	v_pk_mul_f32 v[156:157], v[168:169], v[234:235] op_sel:[0,1]
	v_mov_b32_e32 v155, v153
	v_pk_fma_f32 v[152:153], v[168:169], v[234:235], v[156:157] op_sel:[0,0,1] op_sel_hi:[1,1,0] neg_lo:[0,0,1] neg_hi:[0,0,1]
	v_pk_fma_f32 v[156:157], v[168:169], v[234:235], v[156:157] op_sel:[0,0,1] op_sel_hi:[1,0,0]
	v_pk_mul_f32 v[158:159], v[148:149], v[0:1] op_sel_hi:[1,0]
	v_mov_b32_e32 v153, v157
	v_pk_fma_f32 v[156:157], v[148:149], v[236:237], v[158:159] op_sel:[0,0,1] op_sel_hi:[1,1,0] neg_lo:[0,0,1] neg_hi:[0,0,1]
	v_pk_fma_f32 v[148:149], v[148:149], v[236:237], v[158:159] op_sel:[0,0,1] op_sel_hi:[1,0,0]
	v_mov_b32_e32 v0, v241
	v_mov_b32_e32 v157, v149
	v_pk_mul_f32 v[148:149], v[164:165], v[238:239] op_sel:[0,1]
	v_mov_b32_e32 v9, v5
	v_pk_fma_f32 v[158:159], v[164:165], v[238:239], v[148:149] op_sel:[0,0,1] op_sel_hi:[1,1,0] neg_lo:[0,0,1] neg_hi:[0,0,1]
	v_pk_fma_f32 v[148:149], v[164:165], v[238:239], v[148:149] op_sel:[0,0,1] op_sel_hi:[1,0,0]
	v_pk_add_f32 v[4:5], v[142:143], v[200:201]
	v_mov_b32_e32 v159, v149
	v_pk_mul_f32 v[148:149], v[144:145], v[0:1] op_sel_hi:[1,0]
	v_pk_add_f32 v[4:5], v[4:5], v[186:187]
	v_pk_fma_f32 v[162:163], v[144:145], v[240:241], v[148:149] op_sel:[0,0,1] op_sel_hi:[1,1,0] neg_lo:[0,0,1] neg_hi:[0,0,1]
	v_pk_fma_f32 v[144:145], v[144:145], v[240:241], v[148:149] op_sel:[0,0,1] op_sel_hi:[1,0,0]
	v_pk_add_f32 v[168:169], v[210:211], v[214:215] neg_lo:[0,1] neg_hi:[0,1]
	v_mov_b32_e32 v163, v145
	v_pk_mul_f32 v[144:145], v[160:161], v[2:3] op_sel:[0,1]
	v_pk_add_f32 v[4:5], v[4:5], v[182:183]
	v_pk_fma_f32 v[164:165], v[160:161], v[2:3], v[144:145] op_sel:[0,0,1] op_sel_hi:[1,1,0] neg_lo:[0,0,1] neg_hi:[0,0,1]
	v_pk_fma_f32 v[144:145], v[160:161], v[2:3], v[144:145] op_sel:[0,0,1] op_sel_hi:[1,0,0]
	v_pk_add_f32 v[160:161], v[210:211], v[214:215]
	v_pk_mul_f32 v[252:253], v[168:169], s[2:3] op_sel_hi:[1,0]
	v_pk_fma_f32 v[180:181], v[160:161], 0.5, v[140:141] op_sel_hi:[1,0,1] neg_lo:[1,0,0] neg_hi:[1,0,0]
	v_pk_add_f32 v[160:161], v[206:207], v[216:217] neg_lo:[0,1] neg_hi:[0,1]
	v_pk_add_f32 v[170:171], v[4:5], v[6:7]
	v_pk_mul_f32 v[226:227], v[160:161], s[8:9] op_sel_hi:[1,0]
	v_pk_add_f32 v[4:5], v[184:185], v[178:179]
	v_pk_add_f32 v[254:255], v[180:181], v[226:227] op_sel:[0,1] op_sel_hi:[1,0]
	v_pk_add_f32 v[180:181], v[180:181], v[226:227] op_sel:[0,1] op_sel_hi:[1,0] neg_lo:[0,1] neg_hi:[0,1]
	v_pk_add_f32 v[226:227], v[254:255], v[252:253] op_sel:[0,1] op_sel_hi:[1,0]
	v_pk_add_f32 v[254:255], v[204:205], v[208:209]
	v_pk_add_f32 v[4:5], v[4:5], v[172:173]
	v_pk_fma_f32 v[254:255], v[254:255], 0.5, v[192:193] op_sel_hi:[1,0,1] neg_lo:[1,0,0] neg_hi:[1,0,0]
	v_pk_mul_f32 v[0:1], v[12:13], s[8:9] op_sel_hi:[1,0]
	v_pk_add_f32 v[4:5], v[4:5], v[166:167]
	v_pk_mul_f32 v[2:3], v[10:11], s[2:3] op_sel_hi:[1,0]
	v_pk_add_f32 v[246:247], v[254:255], v[0:1] op_sel:[0,1] op_sel_hi:[1,0]
	v_pk_add_f32 v[0:1], v[254:255], v[0:1] op_sel:[0,1] op_sel_hi:[1,0] neg_lo:[0,1] neg_hi:[0,1]
	v_pk_add_f32 v[176:177], v[4:5], v[8:9]
	v_pk_add_f32 v[0:1], v[0:1], v[2:3] op_sel:[0,1] op_sel_hi:[1,0] neg_lo:[0,1] neg_hi:[0,1]
	v_pk_add_f32 v[4:5], v[246:247], v[2:3] op_sel:[0,1] op_sel_hi:[1,0]
	v_mov_b32_e32 v247, v1
	v_mov_b32_e32 v246, v4
	v_pk_fma_f32 v[246:247], v[14:15], s[4:5], v[246:247] op_sel_hi:[1,0,1]
	v_pk_add_f32 v[180:181], v[180:181], v[252:253] op_sel:[0,1] op_sel_hi:[1,0] neg_lo:[0,1] neg_hi:[0,1]
	v_pk_mul_f32 v[254:255], v[246:247], s[2:3] op_sel_hi:[1,0]
	v_mov_b32_e32 v252, v226
	v_mov_b32_e32 v253, v181
	v_pk_fma_f32 v[2:3], v[246:247], s[10:11], v[254:255] op_sel:[0,0,1] op_sel_hi:[1,0,0]
	v_pk_fma_f32 v[18:19], v[246:247], s[10:11], v[254:255] op_sel:[0,0,1] op_sel_hi:[1,0,0] neg_lo:[0,0,1] neg_hi:[0,0,1]
	v_pk_fma_f32 v[252:253], v[248:249], s[4:5], v[252:253] op_sel_hi:[1,0,1]
	v_mov_b32_e32 v3, v19
	v_pk_add_f32 v[18:19], v[252:253], v[2:3]
	ds_write_b64 v250, v[18:19] offset:2400
	v_pk_add_f32 v[18:19], v[206:207], v[216:217]
	v_pk_mul_f32 v[168:169], v[168:169], s[8:9] op_sel_hi:[1,0]
	v_pk_fma_f32 v[18:19], v[18:19], 0.5, v[140:141] op_sel_hi:[1,0,1] neg_lo:[1,0,0] neg_hi:[1,0,0]
	v_pk_add_f32 v[140:141], v[210:211], v[206:207] neg_lo:[0,1] neg_hi:[0,1]
	v_pk_add_f32 v[206:207], v[214:215], v[216:217] neg_lo:[0,1] neg_hi:[0,1]
	v_pk_mul_f32 v[160:161], v[160:161], s[2:3] op_sel_hi:[1,0]
	v_pk_add_f32 v[140:141], v[140:141], v[206:207]
	v_pk_add_f32 v[206:207], v[202:203], v[212:213]
	v_pk_add_f32 v[202:203], v[204:205], v[202:203] neg_lo:[0,1] neg_hi:[0,1]
	v_pk_add_f32 v[204:205], v[208:209], v[212:213] neg_lo:[0,1] neg_hi:[0,1]
	v_pk_fma_f32 v[192:193], v[206:207], 0.5, v[192:193] op_sel_hi:[1,0,1] neg_lo:[1,0,0] neg_hi:[1,0,0]
	v_pk_add_f32 v[202:203], v[202:203], v[204:205]
	v_pk_add_f32 v[204:205], v[18:19], v[168:169] op_sel:[0,1] op_sel_hi:[1,0] neg_lo:[0,1] neg_hi:[0,1]
	v_pk_add_f32 v[18:19], v[18:19], v[168:169] op_sel:[0,1] op_sel_hi:[1,0]
	v_pk_mul_f32 v[10:11], v[10:11], s[8:9] op_sel_hi:[1,0]
	v_pk_add_f32 v[18:19], v[18:19], v[160:161] op_sel:[0,1] op_sel_hi:[1,0] neg_lo:[0,1] neg_hi:[0,1]
	v_pk_add_f32 v[160:161], v[204:205], v[160:161] op_sel:[0,1] op_sel_hi:[1,0]
	v_pk_mul_f32 v[12:13], v[12:13], s[2:3] op_sel_hi:[1,0]
	v_pk_add_f32 v[204:205], v[192:193], v[10:11] op_sel:[0,1] op_sel_hi:[1,0] neg_lo:[0,1] neg_hi:[0,1]
	v_pk_add_f32 v[10:11], v[192:193], v[10:11] op_sel:[0,1] op_sel_hi:[1,0]
	v_mov_b32_e32 v169, v19
	v_pk_add_f32 v[10:11], v[10:11], v[12:13] op_sel:[0,1] op_sel_hi:[1,0] neg_lo:[0,1] neg_hi:[0,1]
	v_pk_add_f32 v[12:13], v[204:205], v[12:13] op_sel:[0,1] op_sel_hi:[1,0]
	v_mov_b32_e32 v193, v11
	v_mov_b32_e32 v11, v13
	;; [unrolled: 1-line block ×3, first 2 shown]
	v_pk_fma_f32 v[10:11], v[202:203], s[4:5], v[10:11] op_sel_hi:[1,0,1]
	v_pk_fma_f32 v[192:193], v[202:203], s[4:5], v[192:193] op_sel_hi:[1,0,1]
	v_mov_b32_e32 v19, v161
	v_pk_mul_f32 v[12:13], v[10:11], s[4:5] op_sel_hi:[1,0]
	v_mov_b32_e32 v1, v5
	v_pk_mul_f32 v[204:205], v[192:193], s[8:9] op_sel_hi:[1,0]
	v_pk_fma_f32 v[18:19], v[140:141], s[4:5], v[18:19] op_sel_hi:[1,0,1]
	v_pk_fma_f32 v[10:11], v[10:11], s[16:17], v[12:13] op_sel:[0,0,1] op_sel_hi:[1,1,0] neg_lo:[0,0,1] neg_hi:[0,0,1]
	v_pk_fma_f32 v[0:1], v[14:15], s[4:5], v[0:1] op_sel_hi:[1,0,1]
	v_mov_b32_e32 v168, v160
	v_pk_fma_f32 v[206:207], v[192:193], s[4:5], v[204:205] op_sel:[0,0,1] op_sel_hi:[1,0,0]
	v_pk_fma_f32 v[192:193], v[192:193], s[4:5], v[204:205] op_sel:[0,0,1] op_sel_hi:[1,0,0] neg_lo:[0,0,1] neg_hi:[0,0,1]
	v_pk_add_f32 v[12:13], v[18:19], v[10:11] op_sel:[0,1] op_sel_hi:[1,0]
	v_mov_b32_e32 v181, v227
	v_pk_mul_f32 v[4:5], v[0:1], s[10:11] op_sel_hi:[1,0]
	v_pk_fma_f32 v[168:169], v[140:141], s[4:5], v[168:169] op_sel_hi:[1,0,1]
	v_mov_b32_e32 v207, v193
	ds_write_b64 v250, v[12:13] offset:7200
	v_pk_fma_f32 v[12:13], v[248:249], s[4:5], v[180:181] op_sel_hi:[1,0,1]
	v_pk_fma_f32 v[0:1], v[0:1], s[14:15], v[4:5] op_sel:[0,0,1] op_sel_hi:[1,1,0] neg_lo:[0,0,1] neg_hi:[0,0,1]
	v_pk_add_f32 v[2:3], v[252:253], v[2:3] neg_lo:[0,1] neg_hi:[0,1]
	v_pk_add_f32 v[4:5], v[12:13], v[0:1] op_sel:[0,1] op_sel_hi:[1,0]
	ds_write_b64 v250, v[2:3] offset:14400
	v_pk_add_f32 v[2:3], v[168:169], v[206:207] neg_lo:[0,1] neg_hi:[0,1]
	v_pk_add_f32 v[192:193], v[168:169], v[206:207]
	ds_write_b64 v250, v[4:5] offset:9600
	v_pk_add_f32 v[4:5], v[196:197], v[198:199] neg_lo:[0,1] neg_hi:[0,1]
	ds_write_b64 v250, v[2:3] offset:16800
	v_pk_add_f32 v[2:3], v[18:19], v[10:11] op_sel:[0,1] op_sel_hi:[1,0] neg_lo:[0,1] neg_hi:[0,1]
	v_pk_add_f32 v[0:1], v[12:13], v[0:1] op_sel:[0,1] op_sel_hi:[1,0] neg_lo:[0,1] neg_hi:[0,1]
	v_pk_add_f32 v[16:17], v[170:171], v[176:177]
	ds_write_b64 v250, v[192:193] offset:4800
	ds_write_b64 v250, v[4:5] offset:12000
	;; [unrolled: 1-line block ×4, first 2 shown]
	ds_write2_b64 v250, v[194:195], v[16:17] offset1:100
	v_pk_add_f32 v[0:1], v[186:187], v[182:183]
	v_pk_add_f32 v[2:3], v[200:201], v[6:7] neg_lo:[0,1] neg_hi:[0,1]
	v_pk_fma_f32 v[0:1], v[0:1], 0.5, v[142:143] op_sel_hi:[1,0,1] neg_lo:[1,0,0] neg_hi:[1,0,0]
	v_pk_mul_f32 v[4:5], v[2:3], s[8:9] op_sel_hi:[1,0]
	v_pk_add_f32 v[10:11], v[186:187], v[182:183] neg_lo:[0,1] neg_hi:[0,1]
	v_pk_add_f32 v[14:15], v[200:201], v[186:187] neg_lo:[0,1] neg_hi:[0,1]
	;; [unrolled: 1-line block ×3, first 2 shown]
	v_pk_mul_f32 v[12:13], v[10:11], s[2:3] op_sel_hi:[1,0]
	v_pk_add_f32 v[14:15], v[14:15], v[16:17]
	v_pk_add_f32 v[16:17], v[0:1], v[4:5] op_sel:[0,1] op_sel_hi:[1,0]
	v_pk_add_f32 v[0:1], v[0:1], v[4:5] op_sel:[0,1] op_sel_hi:[1,0] neg_lo:[0,1] neg_hi:[0,1]
	v_pk_add_f32 v[4:5], v[16:17], v[12:13] op_sel:[0,1] op_sel_hi:[1,0]
	v_pk_add_f32 v[16:17], v[172:173], v[166:167]
	v_pk_add_f32 v[18:19], v[178:179], v[8:9] neg_lo:[0,1] neg_hi:[0,1]
	v_pk_fma_f32 v[16:17], v[16:17], 0.5, v[184:185] op_sel_hi:[1,0,1] neg_lo:[1,0,0] neg_hi:[1,0,0]
	v_pk_mul_f32 v[140:141], v[18:19], s[8:9] op_sel_hi:[1,0]
	v_pk_add_f32 v[160:161], v[172:173], v[166:167] neg_lo:[0,1] neg_hi:[0,1]
	v_pk_add_f32 v[180:181], v[178:179], v[172:173] neg_lo:[0,1] neg_hi:[0,1]
	;; [unrolled: 1-line block ×3, first 2 shown]
	v_pk_mul_f32 v[168:169], v[160:161], s[2:3] op_sel_hi:[1,0]
	v_pk_add_f32 v[192:193], v[180:181], v[192:193]
	v_pk_add_f32 v[180:181], v[16:17], v[140:141] op_sel:[0,1] op_sel_hi:[1,0]
	v_pk_add_f32 v[16:17], v[16:17], v[140:141] op_sel:[0,1] op_sel_hi:[1,0] neg_lo:[0,1] neg_hi:[0,1]
	v_pk_add_f32 v[140:141], v[180:181], v[168:169] op_sel:[0,1] op_sel_hi:[1,0]
	v_pk_add_f32 v[16:17], v[16:17], v[168:169] op_sel:[0,1] op_sel_hi:[1,0] neg_lo:[0,1] neg_hi:[0,1]
	v_mov_b32_e32 v168, v140
	v_mov_b32_e32 v169, v17
	v_pk_fma_f32 v[168:169], v[192:193], s[4:5], v[168:169] op_sel_hi:[1,0,1]
	v_pk_mul_f32 v[10:11], v[10:11], s[8:9] op_sel_hi:[1,0]
	v_pk_mul_f32 v[180:181], v[168:169], s[2:3] op_sel_hi:[1,0]
	;; [unrolled: 1-line block ×3, first 2 shown]
	v_pk_fma_f32 v[194:195], v[168:169], s[10:11], v[180:181] op_sel:[0,0,1] op_sel_hi:[1,0,0]
	v_pk_fma_f32 v[168:169], v[168:169], s[10:11], v[180:181] op_sel:[0,0,1] op_sel_hi:[1,0,0] neg_lo:[0,0,1] neg_hi:[0,0,1]
	v_pk_add_f32 v[172:173], v[172:173], v[178:179] neg_lo:[0,1] neg_hi:[0,1]
	v_mov_b32_e32 v195, v169
	v_pk_add_f32 v[168:169], v[200:201], v[6:7]
	v_pk_add_f32 v[6:7], v[182:183], v[6:7] neg_lo:[0,1] neg_hi:[0,1]
	v_pk_fma_f32 v[142:143], v[168:169], 0.5, v[142:143] op_sel_hi:[1,0,1] neg_lo:[1,0,0] neg_hi:[1,0,0]
	v_pk_add_f32 v[168:169], v[186:187], v[200:201] neg_lo:[0,1] neg_hi:[0,1]
	v_pk_mul_f32 v[18:19], v[18:19], s[2:3] op_sel_hi:[1,0]
	v_pk_add_f32 v[6:7], v[168:169], v[6:7]
	v_pk_add_f32 v[168:169], v[178:179], v[8:9]
	v_pk_add_f32 v[8:9], v[166:167], v[8:9] neg_lo:[0,1] neg_hi:[0,1]
	v_pk_add_f32 v[166:167], v[142:143], v[10:11] op_sel:[0,1] op_sel_hi:[1,0] neg_lo:[0,1] neg_hi:[0,1]
	v_pk_add_f32 v[10:11], v[142:143], v[10:11] op_sel:[0,1] op_sel_hi:[1,0]
	v_pk_fma_f32 v[168:169], v[168:169], 0.5, v[184:185] op_sel_hi:[1,0,1] neg_lo:[1,0,0] neg_hi:[1,0,0]
	v_pk_add_f32 v[10:11], v[10:11], v[2:3] op_sel:[0,1] op_sel_hi:[1,0] neg_lo:[0,1] neg_hi:[0,1]
	v_pk_add_f32 v[2:3], v[166:167], v[2:3] op_sel:[0,1] op_sel_hi:[1,0]
	v_mov_b32_e32 v143, v11
	v_mov_b32_e32 v142, v2
	v_pk_add_f32 v[8:9], v[172:173], v[8:9]
	v_pk_fma_f32 v[172:173], v[6:7], s[4:5], v[142:143] op_sel_hi:[1,0,1]
	v_pk_mul_f32 v[142:143], v[160:161], s[8:9] op_sel_hi:[1,0]
	v_mov_b32_e32 v11, v3
	v_pk_add_f32 v[160:161], v[168:169], v[142:143] op_sel:[0,1] op_sel_hi:[1,0] neg_lo:[0,1] neg_hi:[0,1]
	v_pk_add_f32 v[142:143], v[168:169], v[142:143] op_sel:[0,1] op_sel_hi:[1,0]
	v_mov_b32_e32 v165, v145
	v_pk_add_f32 v[142:143], v[142:143], v[18:19] op_sel:[0,1] op_sel_hi:[1,0] neg_lo:[0,1] neg_hi:[0,1]
	v_pk_add_f32 v[18:19], v[160:161], v[18:19] op_sel:[0,1] op_sel_hi:[1,0]
	v_mov_b32_e32 v161, v143
	v_mov_b32_e32 v160, v18
	;; [unrolled: 1-line block ×3, first 2 shown]
	v_pk_add_f32 v[144:145], v[136:137], v[146:147]
	v_pk_add_f32 v[148:149], v[138:139], v[150:151]
	v_pk_add_f32 v[0:1], v[0:1], v[12:13] op_sel:[0,1] op_sel_hi:[1,0] neg_lo:[0,1] neg_hi:[0,1]
	v_pk_fma_f32 v[160:161], v[8:9], s[4:5], v[160:161] op_sel_hi:[1,0,1]
	v_pk_fma_f32 v[2:3], v[6:7], s[4:5], v[10:11] op_sel_hi:[1,0,1]
	;; [unrolled: 1-line block ×3, first 2 shown]
	v_mov_b32_e32 v17, v141
	v_pk_add_f32 v[144:145], v[144:145], v[154:155]
	v_pk_add_f32 v[148:149], v[148:149], v[152:153]
	v_mov_b32_e32 v12, v4
	v_mov_b32_e32 v13, v1
	v_pk_mul_f32 v[166:167], v[160:161], s[8:9] op_sel_hi:[1,0]
	v_pk_mul_f32 v[8:9], v[6:7], s[4:5] op_sel_hi:[1,0]
	v_mov_b32_e32 v1, v5
	v_pk_fma_f32 v[4:5], v[192:193], s[4:5], v[16:17] op_sel_hi:[1,0,1]
	v_pk_add_f32 v[144:145], v[144:145], v[156:157]
	v_pk_add_f32 v[148:149], v[148:149], v[158:159]
	v_pk_fma_f32 v[178:179], v[160:161], s[4:5], v[166:167] op_sel:[0,0,1] op_sel_hi:[1,0,0]
	v_pk_fma_f32 v[160:161], v[160:161], s[4:5], v[166:167] op_sel:[0,0,1] op_sel_hi:[1,0,0] neg_lo:[0,0,1] neg_hi:[0,0,1]
	v_pk_fma_f32 v[6:7], v[6:7], s[16:17], v[8:9] op_sel:[0,0,1] op_sel_hi:[1,1,0] neg_lo:[0,0,1] neg_hi:[0,0,1]
	v_pk_mul_f32 v[8:9], v[4:5], s[10:11] op_sel_hi:[1,0]
	v_pk_add_f32 v[144:145], v[144:145], v[162:163]
	v_pk_add_f32 v[148:149], v[148:149], v[164:165]
	v_mov_b32_e32 v179, v161
	v_pk_add_f32 v[166:167], v[2:3], v[6:7] op_sel:[0,1] op_sel_hi:[1,0]
	v_pk_fma_f32 v[0:1], v[14:15], s[4:5], v[0:1] op_sel_hi:[1,0,1]
	v_pk_fma_f32 v[8:9], v[4:5], s[14:15], v[8:9] op_sel:[0,0,1] op_sel_hi:[1,1,0] neg_lo:[0,0,1] neg_hi:[0,0,1]
	v_pk_add_f32 v[160:161], v[170:171], v[176:177] neg_lo:[0,1] neg_hi:[0,1]
	v_pk_add_f32 v[2:3], v[2:3], v[6:7] op_sel:[0,1] op_sel_hi:[1,0] neg_lo:[0,1] neg_hi:[0,1]
	v_pk_add_f32 v[6:7], v[154:155], v[156:157]
	v_pk_add_f32 v[170:171], v[146:147], v[162:163] neg_lo:[0,1] neg_hi:[0,1]
	v_pk_add_f32 v[174:175], v[144:145], v[148:149]
	v_pk_add_f32 v[168:169], v[172:173], v[178:179]
	v_pk_add_f32 v[4:5], v[0:1], v[8:9] op_sel:[0,1] op_sel_hi:[1,0]
	v_pk_add_f32 v[140:141], v[172:173], v[178:179] neg_lo:[0,1] neg_hi:[0,1]
	v_pk_add_f32 v[0:1], v[0:1], v[8:9] op_sel:[0,1] op_sel_hi:[1,0] neg_lo:[0,1] neg_hi:[0,1]
	v_pk_fma_f32 v[178:179], v[6:7], 0.5, v[136:137] op_sel_hi:[1,0,1] neg_lo:[1,0,0] neg_hi:[1,0,0]
	v_pk_mul_f32 v[182:183], v[170:171], s[8:9] op_sel_hi:[1,0]
	v_pk_add_f32 v[172:173], v[154:155], v[156:157] neg_lo:[0,1] neg_hi:[0,1]
	v_pk_add_f32 v[6:7], v[146:147], v[154:155] neg_lo:[0,1] neg_hi:[0,1]
	;; [unrolled: 1-line block ×3, first 2 shown]
	ds_write_b64 v250, v[174:175] offset:1600
	v_pk_mul_f32 v[174:175], v[172:173], s[2:3] op_sel_hi:[1,0]
	v_pk_add_f32 v[176:177], v[6:7], v[8:9]
	v_pk_add_f32 v[6:7], v[178:179], v[182:183] op_sel:[0,1] op_sel_hi:[1,0]
	v_pk_add_f32 v[8:9], v[178:179], v[182:183] op_sel:[0,1] op_sel_hi:[1,0] neg_lo:[0,1] neg_hi:[0,1]
	v_pk_add_f32 v[182:183], v[6:7], v[174:175] op_sel:[0,1] op_sel_hi:[1,0]
	v_pk_add_f32 v[178:179], v[8:9], v[174:175] op_sel:[0,1] op_sel_hi:[1,0] neg_lo:[0,1] neg_hi:[0,1]
	v_mov_b32_e32 v6, v182
	v_mov_b32_e32 v7, v179
	v_pk_fma_f32 v[12:13], v[14:15], s[4:5], v[12:13] op_sel_hi:[1,0,1]
	v_pk_fma_f32 v[174:175], v[176:177], s[4:5], v[6:7] op_sel_hi:[1,0,1]
	v_pk_add_f32 v[6:7], v[152:153], v[158:159]
	v_pk_add_f32 v[8:9], v[150:151], v[164:165] neg_lo:[0,1] neg_hi:[0,1]
	v_pk_add_f32 v[180:181], v[12:13], v[194:195]
	v_pk_add_f32 v[142:143], v[12:13], v[194:195] neg_lo:[0,1] neg_hi:[0,1]
	v_pk_fma_f32 v[6:7], v[6:7], 0.5, v[138:139] op_sel_hi:[1,0,1] neg_lo:[1,0,0] neg_hi:[1,0,0]
	v_pk_mul_f32 v[10:11], v[8:9], s[8:9] op_sel_hi:[1,0]
	v_pk_add_f32 v[12:13], v[152:153], v[158:159] neg_lo:[0,1] neg_hi:[0,1]
	v_pk_add_f32 v[16:17], v[150:151], v[152:153] neg_lo:[0,1] neg_hi:[0,1]
	;; [unrolled: 1-line block ×3, first 2 shown]
	v_pk_mul_f32 v[14:15], v[12:13], s[2:3] op_sel_hi:[1,0]
	v_pk_add_f32 v[186:187], v[16:17], v[18:19]
	v_pk_add_f32 v[16:17], v[6:7], v[10:11] op_sel:[0,1] op_sel_hi:[1,0]
	v_pk_add_f32 v[6:7], v[6:7], v[10:11] op_sel:[0,1] op_sel_hi:[1,0] neg_lo:[0,1] neg_hi:[0,1]
	v_pk_add_f32 v[194:195], v[16:17], v[14:15] op_sel:[0,1] op_sel_hi:[1,0]
	v_pk_add_f32 v[192:193], v[6:7], v[14:15] op_sel:[0,1] op_sel_hi:[1,0] neg_lo:[0,1] neg_hi:[0,1]
	v_mov_b32_e32 v6, v194
	v_mov_b32_e32 v7, v193
	v_pk_fma_f32 v[6:7], v[186:187], s[4:5], v[6:7] op_sel_hi:[1,0,1]
	v_pk_add_f32 v[14:15], v[156:157], v[162:163] neg_lo:[0,1] neg_hi:[0,1]
	v_pk_mul_f32 v[10:11], v[6:7], s[2:3] op_sel_hi:[1,0]
	v_pk_add_f32 v[16:17], v[152:153], v[150:151] neg_lo:[0,1] neg_hi:[0,1]
	v_pk_fma_f32 v[184:185], v[6:7], s[10:11], v[10:11] op_sel:[0,0,1] op_sel_hi:[1,0,0]
	v_pk_fma_f32 v[6:7], v[6:7], s[10:11], v[10:11] op_sel:[0,0,1] op_sel_hi:[1,0,0] neg_lo:[0,0,1] neg_hi:[0,0,1]
	v_pk_add_f32 v[10:11], v[154:155], v[146:147] neg_lo:[0,1] neg_hi:[0,1]
	v_mov_b32_e32 v185, v7
	v_pk_add_f32 v[6:7], v[174:175], v[184:185]
	ds_write2_b64 v103, v[180:181], v[6:7] offset0:144 offset1:244
	v_pk_add_f32 v[6:7], v[146:147], v[162:163]
	v_pk_add_f32 v[18:19], v[158:159], v[164:165] neg_lo:[0,1] neg_hi:[0,1]
	v_pk_fma_f32 v[6:7], v[6:7], 0.5, v[136:137] op_sel_hi:[1,0,1] neg_lo:[1,0,0] neg_hi:[1,0,0]
	v_pk_add_f32 v[10:11], v[10:11], v[14:15]
	v_pk_add_f32 v[14:15], v[150:151], v[164:165]
	;; [unrolled: 1-line block ×3, first 2 shown]
	v_pk_mul_f32 v[18:19], v[172:173], s[8:9] op_sel_hi:[1,0]
	v_pk_fma_f32 v[14:15], v[14:15], 0.5, v[138:139] op_sel_hi:[1,0,1] neg_lo:[1,0,0] neg_hi:[1,0,0]
	v_pk_mul_f32 v[136:137], v[170:171], s[2:3] op_sel_hi:[1,0]
	v_pk_add_f32 v[138:139], v[6:7], v[18:19] op_sel:[0,1] op_sel_hi:[1,0] neg_lo:[0,1] neg_hi:[0,1]
	v_pk_mul_f32 v[12:13], v[12:13], s[8:9] op_sel_hi:[1,0]
	v_pk_add_f32 v[6:7], v[6:7], v[18:19] op_sel:[0,1] op_sel_hi:[1,0]
	v_pk_add_f32 v[18:19], v[138:139], v[136:137] op_sel:[0,1] op_sel_hi:[1,0]
	v_pk_mul_f32 v[8:9], v[8:9], s[2:3] op_sel_hi:[1,0]
	v_pk_add_f32 v[138:139], v[14:15], v[12:13] op_sel:[0,1] op_sel_hi:[1,0] neg_lo:[0,1] neg_hi:[0,1]
	v_pk_add_f32 v[12:13], v[14:15], v[12:13] op_sel:[0,1] op_sel_hi:[1,0]
	v_pk_add_f32 v[6:7], v[6:7], v[136:137] op_sel:[0,1] op_sel_hi:[1,0] neg_lo:[0,1] neg_hi:[0,1]
	v_pk_add_f32 v[12:13], v[12:13], v[8:9] op_sel:[0,1] op_sel_hi:[1,0] neg_lo:[0,1] neg_hi:[0,1]
	v_pk_add_f32 v[8:9], v[138:139], v[8:9] op_sel:[0,1] op_sel_hi:[1,0]
	v_mov_b32_e32 v15, v13
	v_mov_b32_e32 v14, v8
	v_pk_fma_f32 v[14:15], v[16:17], s[4:5], v[14:15] op_sel_hi:[1,0,1]
	v_mov_b32_e32 v13, v9
	v_pk_mul_f32 v[138:139], v[14:15], s[8:9] op_sel_hi:[1,0]
	v_mov_b32_e32 v136, v18
	v_mov_b32_e32 v137, v7
	v_pk_fma_f32 v[146:147], v[14:15], s[4:5], v[138:139] op_sel:[0,0,1] op_sel_hi:[1,0,0]
	v_pk_fma_f32 v[14:15], v[14:15], s[4:5], v[138:139] op_sel:[0,0,1] op_sel_hi:[1,0,0] neg_lo:[0,0,1] neg_hi:[0,0,1]
	v_mov_b32_e32 v7, v19
	v_pk_fma_f32 v[8:9], v[16:17], s[4:5], v[12:13] op_sel_hi:[1,0,1]
	v_pk_fma_f32 v[136:137], v[10:11], s[4:5], v[136:137] op_sel_hi:[1,0,1]
	v_mov_b32_e32 v147, v15
	v_pk_fma_f32 v[6:7], v[10:11], s[4:5], v[6:7] op_sel_hi:[1,0,1]
	v_pk_mul_f32 v[10:11], v[8:9], s[4:5] op_sel_hi:[1,0]
	v_mov_b32_e32 v193, v195
	v_pk_add_f32 v[14:15], v[136:137], v[146:147]
	v_accvgpr_read_b32 v18, a64
	v_pk_fma_f32 v[8:9], v[8:9], s[16:17], v[10:11] op_sel:[0,0,1] op_sel_hi:[1,1,0] neg_lo:[0,0,1] neg_hi:[0,0,1]
	v_pk_fma_f32 v[12:13], v[186:187], s[4:5], v[192:193] op_sel_hi:[1,0,1]
	ds_write2_b64 v18, v[168:169], v[14:15] offset0:60 offset1:160
	v_pk_add_f32 v[10:11], v[6:7], v[8:9] op_sel:[0,1] op_sel_hi:[1,0]
	v_mov_b32_e32 v179, v183
	v_pk_mul_f32 v[14:15], v[12:13], s[10:11] op_sel_hi:[1,0]
	ds_write2_b64 v99, v[166:167], v[10:11] offset0:104 offset1:204
	v_pk_fma_f32 v[10:11], v[176:177], s[4:5], v[178:179] op_sel_hi:[1,0,1]
	v_pk_fma_f32 v[12:13], v[12:13], s[14:15], v[14:15] op_sel:[0,0,1] op_sel_hi:[1,1,0] neg_lo:[0,0,1] neg_hi:[0,0,1]
	v_accvgpr_read_b32 v248, a65
	v_pk_add_f32 v[14:15], v[10:11], v[12:13] op_sel:[0,1] op_sel_hi:[1,0]
	ds_write2_b64 v79, v[4:5], v[14:15] offset0:20 offset1:120
	v_pk_add_f32 v[4:5], v[144:145], v[148:149] neg_lo:[0,1] neg_hi:[0,1]
	ds_write2_b64 v47, v[160:161], v[4:5] offset0:64 offset1:164
	v_pk_add_f32 v[4:5], v[174:175], v[184:185] neg_lo:[0,1] neg_hi:[0,1]
	;; [unrolled: 2-line block ×3, first 2 shown]
	ds_write2_b64 v229, v[140:141], v[4:5] offset0:152 offset1:252
	v_pk_add_f32 v[4:5], v[6:7], v[8:9] op_sel:[0,1] op_sel_hi:[1,0] neg_lo:[0,1] neg_hi:[0,1]
	ds_write2_b64 v248, v[2:3], v[4:5] offset0:68 offset1:168
	v_pk_add_f32 v[2:3], v[10:11], v[12:13] op_sel:[0,1] op_sel_hi:[1,0] neg_lo:[0,1] neg_hi:[0,1]
	ds_write2_b64 v27, v[0:1], v[2:3] offset0:112 offset1:212
	s_waitcnt lgkmcnt(0)
	s_barrier
	global_load_dwordx2 v[0:1], v[190:191], off offset:3520
	ds_read2_b64 v[142:145], v250 offset1:100
	v_lshl_add_u64 v[180:181], v[188:189], 0, s[6:7]
	s_movk_i32 s5, 0x7000
	v_add_co_u32_e32 v182, vcc, s5, v188
	s_mov_b32 s5, 0x8000
	s_nop 0
	v_addc_co_u32_e32 v183, vcc, 0, v189, vcc
	v_mov_b32_e32 v237, v229
	v_mov_b32_e32 v247, v27
	s_mov_b32 s16, s4
	s_mov_b32 s6, 0xbe9e377a
	;; [unrolled: 1-line block ×4, first 2 shown]
	v_mov_b32_e32 v241, v79
	v_mov_b32_e32 v233, v47
	;; [unrolled: 1-line block ×5, first 2 shown]
	s_waitcnt vmcnt(0) lgkmcnt(0)
	v_mul_f32_e32 v2, v143, v1
	v_mul_f32_e32 v3, v142, v1
	v_fma_f32 v2, v142, v0, -v2
	v_fmac_f32_e32 v3, v143, v0
	ds_write_b64 v250, v[2:3]
	global_load_dwordx2 v[2:3], v[180:181], off offset:2400
	ds_read2_b64 v[154:157], v55 offset0:72 offset1:172
	ds_read2_b64 v[150:153], v115 offset0:32 offset1:132
	;; [unrolled: 1-line block ×8, first 2 shown]
	s_waitcnt vmcnt(0) lgkmcnt(7)
	v_mul_f32_e32 v0, v157, v3
	v_mul_f32_e32 v1, v156, v3
	v_fma_f32 v0, v156, v2, -v0
	v_fmac_f32_e32 v1, v157, v2
	global_load_dwordx2 v[2:3], v[182:183], off offset:128
	ds_read2_b64 v[156:159], v59 offset0:88 offset1:188
	s_waitcnt vmcnt(0) lgkmcnt(0)
	v_mul_f32_e32 v4, v157, v3
	v_mul_f32_e32 v185, v156, v3
	v_fma_f32 v184, v156, v2, -v4
	v_fmac_f32_e32 v185, v157, v2
	global_load_dwordx2 v[2:3], v[182:183], off offset:2528
	s_waitcnt vmcnt(0)
	v_mul_f32_e32 v4, v153, v3
	v_mul_f32_e32 v5, v152, v3
	v_fma_f32 v4, v152, v2, -v4
	v_fmac_f32_e32 v5, v153, v2
	v_add_co_u32_e32 v2, vcc, s5, v188
	s_mov_b32 s5, 0x9000
	s_nop 0
	v_addc_co_u32_e32 v3, vcc, 0, v189, vcc
	global_load_dwordx2 v[6:7], v[2:3], off offset:832
	v_add_co_u32_e32 v176, vcc, s5, v188
	s_mov_b32 s5, 0xa000
	s_nop 0
	v_addc_co_u32_e32 v177, vcc, 0, v189, vcc
	v_add_co_u32_e32 v152, vcc, s5, v188
	s_mov_b32 s5, 0xb000
	s_nop 0
	v_addc_co_u32_e32 v153, vcc, 0, v189, vcc
	s_waitcnt vmcnt(0)
	v_mul_f32_e32 v8, v161, v7
	v_mul_f32_e32 v187, v160, v7
	v_fma_f32 v186, v160, v6, -v8
	v_fmac_f32_e32 v187, v161, v6
	global_load_dwordx2 v[6:7], v[2:3], off offset:3232
	s_waitcnt vmcnt(0)
	v_mul_f32_e32 v8, v149, v7
	v_mul_f32_e32 v161, v148, v7
	v_fma_f32 v160, v148, v6, -v8
	v_fmac_f32_e32 v161, v149, v6
	global_load_dwordx2 v[6:7], v[176:177], off offset:1536
	v_add_co_u32_e32 v148, vcc, s5, v188
	s_waitcnt vmcnt(0)
	v_mul_f32_e32 v8, v165, v7
	v_mul_f32_e32 v179, v164, v7
	v_fma_f32 v178, v164, v6, -v8
	v_fmac_f32_e32 v179, v165, v6
	global_load_dwordx2 v[6:7], v[176:177], off offset:3936
	v_addc_co_u32_e32 v149, vcc, 0, v189, vcc
	s_waitcnt vmcnt(0)
	v_mul_f32_e32 v8, v143, v7
	v_mul_f32_e32 v191, v142, v7
	v_fma_f32 v190, v142, v6, -v8
	v_fmac_f32_e32 v191, v143, v6
	global_load_dwordx2 v[6:7], v[152:153], off offset:2240
	s_waitcnt vmcnt(0)
	v_mul_f32_e32 v8, v173, v7
	v_mul_f32_e32 v165, v172, v7
	v_fma_f32 v164, v172, v6, -v8
	v_fmac_f32_e32 v165, v173, v6
	global_load_dwordx2 v[6:7], v[148:149], off offset:544
	ds_read2_b64 v[170:173], v103 offset0:144 offset1:244
	s_waitcnt vmcnt(0)
	v_mul_f32_e32 v8, v139, v7
	v_mul_f32_e32 v193, v138, v7
	v_fma_f32 v192, v138, v6, -v8
	v_fmac_f32_e32 v193, v139, v6
	global_load_dwordx2 v[6:7], v[180:181], off offset:800
	s_waitcnt vmcnt(0)
	v_mul_f32_e32 v8, v145, v7
	v_mul_f32_e32 v195, v144, v7
	v_fma_f32 v194, v144, v6, -v8
	v_fmac_f32_e32 v195, v145, v6
	global_load_dwordx2 v[6:7], v[180:181], off offset:3200
	ds_read2_b64 v[142:145], v27 offset0:112 offset1:212
	s_waitcnt vmcnt(0) lgkmcnt(1)
	v_mul_f32_e32 v8, v171, v7
	v_mul_f32_e32 v9, v170, v7
	v_fma_f32 v8, v170, v6, -v8
	v_fmac_f32_e32 v9, v171, v6
	ds_write2_b64 v103, v[0:1], v[8:9] offset0:44 offset1:144
	global_load_dwordx2 v[0:1], v[182:183], off offset:928
	ds_read2_b64 v[168:171], v99 offset0:104 offset1:204
	s_waitcnt vmcnt(0)
	v_mul_f32_e32 v6, v159, v1
	v_mul_f32_e32 v189, v158, v1
	v_fma_f32 v188, v158, v0, -v6
	v_fmac_f32_e32 v189, v159, v0
	global_load_dwordx2 v[0:1], v[182:183], off offset:3328
	ds_read2_b64 v[156:159], v47 offset0:64 offset1:164
	s_waitcnt vmcnt(0) lgkmcnt(1)
	v_mul_f32_e32 v6, v169, v1
	v_mul_f32_e32 v7, v168, v1
	v_fma_f32 v6, v168, v0, -v6
	v_fmac_f32_e32 v7, v169, v0
	global_load_dwordx2 v[0:1], v[2:3], off offset:1632
	ds_write2_b64 v115, v[4:5], v[6:7] offset0:132 offset1:232
	s_waitcnt vmcnt(0)
	v_mul_f32_e32 v4, v163, v1
	v_mul_f32_e32 v139, v162, v1
	v_fma_f32 v138, v162, v0, -v4
	v_fmac_f32_e32 v139, v163, v0
	global_load_dwordx2 v[0:1], v[2:3], off offset:4032
	s_waitcnt vmcnt(0) lgkmcnt(1)
	v_mul_f32_e32 v4, v157, v1
	v_mul_f32_e32 v5, v156, v1
	v_fma_f32 v4, v156, v0, -v4
	v_fmac_f32_e32 v5, v157, v0
	v_add_u32_e32 v0, 0x2c00, v250
	ds_write2_b64 v0, v[160:161], v[4:5] offset0:92 offset1:192
	global_load_dwordx2 v[0:1], v[176:177], off offset:2336
	ds_read2_b64 v[160:163], v229 offset0:152 offset1:252
	s_waitcnt vmcnt(0)
	v_mul_f32_e32 v4, v167, v1
	v_mul_f32_e32 v5, v166, v1
	v_fma_f32 v4, v166, v0, -v4
	v_fmac_f32_e32 v5, v167, v0
	global_load_dwordx2 v[0:1], v[152:153], off offset:640
	s_waitcnt vmcnt(0) lgkmcnt(0)
	v_mul_f32_e32 v6, v161, v1
	v_mul_f32_e32 v7, v160, v1
	v_fma_f32 v6, v160, v0, -v6
	v_fmac_f32_e32 v7, v161, v0
	ds_write2_b64 v229, v[190:191], v[6:7] offset0:52 offset1:152
	global_load_dwordx2 v[6:7], v[152:153], off offset:3040
	v_accvgpr_read_b32 v229, a64
	s_waitcnt vmcnt(0)
	v_mul_f32_e32 v0, v175, v7
	v_mul_f32_e32 v1, v174, v7
	v_fma_f32 v0, v174, v6, -v0
	v_fmac_f32_e32 v1, v175, v6
	global_load_dwordx2 v[6:7], v[148:149], off offset:1344
	s_waitcnt vmcnt(0)
	v_mul_f32_e32 v8, v143, v7
	v_mul_f32_e32 v9, v142, v7
	v_fma_f32 v8, v142, v6, -v8
	v_fmac_f32_e32 v9, v143, v6
	global_load_dwordx2 v[6:7], v[180:181], off offset:1600
	ds_write2_b64 v87, v[192:193], v[8:9] offset0:140 offset1:240
	s_waitcnt vmcnt(0)
	v_mul_f32_e32 v8, v155, v7
	v_mul_f32_e32 v9, v154, v7
	v_fma_f32 v8, v154, v6, -v8
	v_fmac_f32_e32 v9, v155, v6
	global_load_dwordx2 v[6:7], v[180:181], off offset:4000
	ds_write2_b64 v250, v[194:195], v[8:9] offset0:100 offset1:200
	s_waitcnt vmcnt(0)
	v_mul_f32_e32 v8, v173, v7
	v_mul_f32_e32 v9, v172, v7
	v_fma_f32 v8, v172, v6, -v8
	v_fmac_f32_e32 v9, v173, v6
	v_add_u32_e32 v6, 0xc00, v250
	ds_write2_b64 v6, v[8:9], v[184:185] offset0:116 offset1:216
	global_load_dwordx2 v[6:7], v[182:183], off offset:1728
	s_waitcnt vmcnt(0)
	v_mul_f32_e32 v8, v151, v7
	v_mul_f32_e32 v9, v150, v7
	v_fma_f32 v8, v150, v6, -v8
	v_fmac_f32_e32 v9, v151, v6
	global_load_dwordx2 v[6:7], v[2:3], off offset:32
	ds_write2_b64 v18, v[188:189], v[8:9] offset0:60 offset1:160
	global_load_dwordx2 v[2:3], v[2:3], off offset:2432
	s_waitcnt vmcnt(1)
	v_mul_f32_e32 v8, v171, v7
	v_mul_f32_e32 v9, v170, v7
	v_fma_f32 v8, v170, v6, -v8
	v_fmac_f32_e32 v9, v171, v6
	v_add_u32_e32 v6, 0x2000, v250
	ds_write2_b64 v6, v[8:9], v[186:187] offset0:76 offset1:176
	s_waitcnt vmcnt(0)
	v_mul_f32_e32 v6, v147, v3
	v_mul_f32_e32 v7, v146, v3
	v_fma_f32 v6, v146, v2, -v6
	v_fmac_f32_e32 v7, v147, v2
	global_load_dwordx2 v[2:3], v[176:177], off offset:736
	ds_write2_b64 v79, v[138:139], v[6:7] offset0:20 offset1:120
	s_waitcnt vmcnt(0)
	v_mul_f32_e32 v6, v159, v3
	v_mul_f32_e32 v7, v158, v3
	v_fma_f32 v6, v158, v2, -v6
	v_fmac_f32_e32 v7, v159, v2
	v_add_u32_e32 v2, 0x3400, v250
	ds_write2_b64 v2, v[6:7], v[178:179] offset0:36 offset1:136
	global_load_dwordx2 v[2:3], v[176:177], off offset:3136
	s_waitcnt vmcnt(0)
	v_mul_f32_e32 v6, v141, v3
	v_mul_f32_e32 v7, v140, v3
	v_fma_f32 v6, v140, v2, -v6
	v_fmac_f32_e32 v7, v141, v2
	global_load_dwordx2 v[2:3], v[152:153], off offset:1440
	ds_write2_b64 v123, v[4:5], v[6:7] offset0:108 offset1:208
	s_waitcnt vmcnt(0)
	v_mul_f32_e32 v4, v163, v3
	v_mul_f32_e32 v5, v162, v3
	v_fma_f32 v4, v162, v2, -v4
	v_fmac_f32_e32 v5, v163, v2
	v_add_u32_e32 v2, 0x4400, v250
	ds_write2_b64 v2, v[4:5], v[164:165] offset0:124 offset1:224
	global_load_dwordx2 v[2:3], v[152:153], off offset:3840
	s_waitcnt vmcnt(0)
	v_mul_f32_e32 v4, v137, v3
	v_mul_f32_e32 v5, v136, v3
	v_fma_f32 v4, v136, v2, -v4
	v_fmac_f32_e32 v5, v137, v2
	ds_write2_b64 v248, v[0:1], v[4:5] offset0:68 offset1:168
	global_load_dwordx2 v[0:1], v[148:149], off offset:2144
	s_waitcnt vmcnt(0)
	v_mul_f32_e32 v2, v145, v1
	v_mul_f32_e32 v3, v144, v1
	v_fma_f32 v2, v144, v0, -v2
	v_fmac_f32_e32 v3, v145, v0
	ds_write_b64 v250, v[2:3] offset:23200
	s_waitcnt lgkmcnt(0)
	s_barrier
	ds_read2_b64 v[212:215], v250 offset1:100
	ds_read2_b64 v[136:139], v103 offset0:144 offset1:244
	ds_read2_b64 v[196:199], v59 offset0:88 offset1:188
	;; [unrolled: 1-line block ×9, first 2 shown]
	s_waitcnt lgkmcnt(4)
	v_mov_b32_e32 v2, v144
	v_mov_b32_e32 v6, v140
	s_waitcnt lgkmcnt(2)
	v_mov_b32_e32 v3, v148
	v_mov_b32_e32 v8, v141
	s_waitcnt lgkmcnt(0)
	v_mov_b32_e32 v7, v152
	v_pk_add_f32 v[4:5], v[140:141], v[152:153]
	v_pk_add_f32 v[2:3], v[2:3], v[6:7] neg_lo:[0,1] neg_hi:[0,1]
	v_fma_f32 v23, -0.5, v4, v136
	v_mov_b32_e32 v4, v3
	v_pk_add_f32 v[6:7], v[2:3], v[4:5]
	v_fma_f32 v27, -0.5, v5, v137
	v_mov_b32_e32 v4, v145
	v_mov_b32_e32 v5, v149
	;; [unrolled: 1-line block ×3, first 2 shown]
	v_pk_add_f32 v[4:5], v[4:5], v[8:9] neg_lo:[0,1] neg_hi:[0,1]
	v_pk_add_f32 v[10:11], v[198:199], v[210:211] neg_lo:[0,1] neg_hi:[0,1]
	v_mov_b32_e32 v8, v5
	v_pk_add_f32 v[4:5], v[4:5], v[8:9]
	v_pk_add_f32 v[8:9], v[202:203], v[206:207]
	v_pk_mul_f32 v[12:13], v[10:11], s[8:9] op_sel_hi:[1,0]
	v_pk_fma_f32 v[8:9], v[8:9], 0.5, v[214:215] op_sel_hi:[1,0,1] neg_lo:[1,0,0] neg_hi:[1,0,0]
	v_pk_add_f32 v[14:15], v[202:203], v[206:207] neg_lo:[0,1] neg_hi:[0,1]
	v_pk_add_f32 v[18:19], v[198:199], v[202:203] neg_lo:[0,1] neg_hi:[0,1]
	v_pk_add_f32 v[158:159], v[210:211], v[206:207] neg_lo:[0,1] neg_hi:[0,1]
	v_pk_mul_f32 v[16:17], v[14:15], s[2:3] op_sel_hi:[1,0]
	v_pk_add_f32 v[18:19], v[18:19], v[158:159]
	v_pk_add_f32 v[158:159], v[8:9], v[12:13] op_sel:[0,1] op_sel_hi:[1,0] neg_lo:[0,1] neg_hi:[0,1]
	v_pk_add_f32 v[8:9], v[8:9], v[12:13] op_sel:[0,1] op_sel_hi:[1,0]
	v_pk_add_f32 v[12:13], v[158:159], v[16:17] op_sel:[0,1] op_sel_hi:[1,0] neg_lo:[0,1] neg_hi:[0,1]
	v_pk_add_f32 v[158:159], v[144:145], v[148:149]
	v_pk_add_f32 v[2:3], v[136:137], v[140:141]
	v_pk_fma_f32 v[136:137], v[158:159], 0.5, v[136:137] op_sel_hi:[1,0,1] neg_lo:[1,0,0] neg_hi:[1,0,0]
	v_pk_add_f32 v[158:159], v[140:141], v[152:153] neg_lo:[0,1] neg_hi:[0,1]
	v_pk_add_f32 v[164:165], v[144:145], v[148:149] neg_lo:[0,1] neg_hi:[0,1]
	v_pk_mul_f32 v[160:161], v[158:159], s[8:9] op_sel_hi:[1,0]
	v_pk_add_f32 v[2:3], v[2:3], v[144:145]
	v_pk_add_f32 v[8:9], v[8:9], v[16:17] op_sel:[0,1] op_sel_hi:[1,0]
	v_pk_add_f32 v[162:163], v[136:137], v[160:161] op_sel:[0,1] op_sel_hi:[1,0]
	v_pk_mul_f32 v[166:167], v[164:165], s[2:3] op_sel_hi:[1,0]
	v_pk_add_f32 v[140:141], v[140:141], v[144:145] neg_lo:[0,1] neg_hi:[0,1]
	v_pk_add_f32 v[144:145], v[152:153], v[148:149] neg_lo:[0,1] neg_hi:[0,1]
	v_mov_b32_e32 v16, v12
	v_mov_b32_e32 v17, v9
	v_pk_add_f32 v[162:163], v[166:167], v[162:163] op_sel:[1,0] op_sel_hi:[0,1]
	v_pk_add_f32 v[140:141], v[140:141], v[144:145]
	v_pk_add_f32 v[136:137], v[136:137], v[160:161] op_sel:[0,1] op_sel_hi:[1,0] neg_lo:[0,1] neg_hi:[0,1]
	v_pk_fma_f32 v[16:17], v[18:19], s[4:5], v[16:17] op_sel_hi:[1,0,1]
	v_pk_fma_f32 v[144:145], v[140:141], s[4:5], v[162:163] op_sel_hi:[1,0,1]
	v_mov_b32_e32 v7, v159
	s_mov_b32 s5, s2
	v_pk_add_f32 v[136:137], v[136:137], v[166:167] op_sel:[0,1] op_sel_hi:[1,0] neg_lo:[0,1] neg_hi:[0,1]
	v_fmamk_f32 v5, v165, 0x3f737871, v23
	v_pk_mul_f32 v[6:7], v[6:7], s[4:5]
	v_mov_b32_e32 v162, v136
	v_pk_add_f32 v[2:3], v[2:3], v[148:149]
	v_sub_f32_e32 v5, v5, v7
	v_fmac_f32_e32 v23, 0xbf737871, v165
	v_pk_fma_f32 v[148:149], v[140:141], s[4:5], v[162:163] op_sel_hi:[1,0,1]
	v_pk_add_f32 v[2:3], v[2:3], v[152:153]
	v_add_f32_e32 v12, v6, v5
	v_add_f32_e32 v5, v7, v23
	v_pk_mul_f32 v[152:153], v[148:149], s[2:3] op_sel_hi:[1,0]
	v_add_f32_e32 v6, v6, v5
	v_mov_b32_e32 v5, v158
	v_pk_fma_f32 v[160:161], v[148:149], s[10:11], v[152:153] op_sel:[0,0,1] op_sel_hi:[1,0,0] neg_lo:[0,0,1] neg_hi:[0,0,1]
	v_pk_fma_f32 v[148:149], v[148:149], s[10:11], v[152:153] op_sel:[0,0,1] op_sel_hi:[1,0,0]
	v_fmamk_f32 v7, v164, 0xbf737871, v27
	v_pk_mul_f32 v[4:5], v[4:5], s[4:5]
	v_mov_b32_e32 v161, v149
	v_pk_add_f32 v[148:149], v[198:199], v[210:211]
	v_add_f32_e32 v7, v5, v7
	v_pk_fma_f32 v[148:149], v[148:149], 0.5, v[214:215] op_sel_hi:[1,0,1] neg_lo:[1,0,0] neg_hi:[1,0,0]
	v_pk_add_f32 v[152:153], v[202:203], v[198:199] neg_lo:[0,1] neg_hi:[0,1]
	v_pk_add_f32 v[162:163], v[206:207], v[210:211] neg_lo:[0,1] neg_hi:[0,1]
	v_pk_mul_f32 v[14:15], v[14:15], s[8:9] op_sel_hi:[1,0]
	v_pk_fma_f32 v[136:137], v[140:141], s[4:5], v[136:137] op_sel_hi:[1,0,1]
	v_add_f32_e32 v140, v4, v7
	v_pk_add_f32 v[152:153], v[152:153], v[162:163]
	v_pk_mul_f32 v[10:11], v[10:11], s[2:3] op_sel_hi:[1,0]
	v_pk_add_f32 v[162:163], v[148:149], v[14:15] op_sel:[0,1] op_sel_hi:[1,0]
	v_pk_add_f32 v[14:15], v[148:149], v[14:15] op_sel:[0,1] op_sel_hi:[1,0] neg_lo:[0,1] neg_hi:[0,1]
	s_mov_b32 s9, s4
	v_pk_add_f32 v[14:15], v[14:15], v[10:11] op_sel:[0,1] op_sel_hi:[1,0]
	v_pk_add_f32 v[10:11], v[162:163], v[10:11] op_sel:[0,1] op_sel_hi:[1,0] neg_lo:[0,1] neg_hi:[0,1]
	v_pk_mul_f32 v[140:141], v[140:141], s[8:9] op_sel_hi:[0,1]
	ds_read2_b64 v[176:179], v55 offset0:72 offset1:172
	v_pk_add_f32 v[0:1], v[214:215], v[198:199]
	v_mov_b32_e32 v148, v10
	v_mov_b32_e32 v149, v15
	v_pk_fma_f32 v[162:163], v[12:13], s[16:17], v[140:141] neg_lo:[0,0,1] neg_hi:[0,0,1]
	v_pk_fma_f32 v[140:141], v[12:13], s[16:17], v[140:141] op_sel_hi:[0,1,1]
	v_pk_add_f32 v[0:1], v[0:1], v[202:203]
	v_fmac_f32_e32 v27, 0x3f737871, v164
	v_pk_fma_f32 v[148:149], v[152:153], s[4:5], v[148:149] op_sel_hi:[1,0,1]
	v_mov_b32_e32 v163, v141
	v_pk_add_f32 v[0:1], v[0:1], v[206:207]
	v_sub_f32_e32 v5, v27, v5
	v_pk_add_f32 v[158:159], v[16:17], v[160:161]
	v_pk_add_f32 v[180:181], v[148:149], v[162:163]
	v_pk_add_f32 v[188:189], v[16:17], v[160:161] neg_lo:[0,1] neg_hi:[0,1]
	v_pk_add_f32 v[190:191], v[148:149], v[162:163] neg_lo:[0,1] neg_hi:[0,1]
	ds_read2_b64 v[168:171], v115 offset0:32 offset1:132
	ds_read2_b64 v[172:175], v79 offset0:120 offset1:220
	;; [unrolled: 1-line block ×4, first 2 shown]
	v_pk_add_f32 v[0:1], v[0:1], v[210:211]
	v_add_f32_e32 v4, v4, v5
	v_pk_add_f32 v[156:157], v[0:1], v[2:3]
	v_pk_mul_f32 v[4:5], v[4:5], s[8:9] op_sel_hi:[0,1]
	v_mov_b32_e32 v15, v11
	v_pk_add_f32 v[194:195], v[0:1], v[2:3] neg_lo:[0,1] neg_hi:[0,1]
	s_waitcnt lgkmcnt(3)
	v_pk_add_f32 v[0:1], v[176:177], v[168:169]
	v_pk_fma_f32 v[4:5], v[6:7], s[6:7], v[4:5] op_sel_hi:[0,1,1] neg_lo:[0,0,1] neg_hi:[0,0,1]
	v_pk_fma_f32 v[6:7], v[152:153], s[4:5], v[14:15] op_sel_hi:[1,0,1]
	s_waitcnt lgkmcnt(2)
	v_pk_add_f32 v[0:1], v[0:1], v[172:173]
	v_pk_add_f32 v[182:183], v[6:7], v[4:5]
	v_pk_add_f32 v[184:185], v[6:7], v[4:5] neg_lo:[0,1] neg_hi:[0,1]
	s_waitcnt lgkmcnt(1)
	v_pk_add_f32 v[0:1], v[0:1], v[160:161]
	v_mov_b32_e32 v2, v146
	v_mov_b32_e32 v3, v150
	v_mov_b32_e32 v4, v142
	v_mov_b32_e32 v5, v154
	s_waitcnt lgkmcnt(0)
	v_pk_add_f32 v[140:141], v[0:1], v[164:165]
	v_pk_add_f32 v[0:1], v[142:143], v[154:155]
	v_pk_add_f32 v[2:3], v[2:3], v[4:5] neg_lo:[0,1] neg_hi:[0,1]
	v_fma_f32 v15, -0.5, v0, v138
	v_mov_b32_e32 v0, v3
	v_pk_add_f32 v[152:153], v[2:3], v[0:1]
	v_pk_add_f32 v[2:3], v[138:139], v[142:143]
	v_mov_b32_e32 v9, v13
	v_pk_mul_f32 v[10:11], v[136:137], s[2:3] op_sel:[1,0]
	v_pk_add_f32 v[2:3], v[2:3], v[146:147]
	v_pk_fma_f32 v[8:9], v[18:19], s[4:5], v[8:9] op_sel_hi:[1,0,1]
	v_pk_fma_f32 v[10:11], v[144:145], s[14:15], v[10:11] op_sel_hi:[0,1,1] neg_lo:[0,0,1] neg_hi:[0,0,1]
	v_pk_add_f32 v[2:3], v[2:3], v[150:151]
	v_pk_add_f32 v[192:193], v[8:9], v[10:11]
	v_pk_add_f32 v[186:187], v[8:9], v[10:11] neg_lo:[0,1] neg_hi:[0,1]
	v_pk_add_f32 v[144:145], v[2:3], v[154:155]
	v_fma_f32 v11, -0.5, v1, v139
	v_mov_b32_e32 v0, v147
	v_mov_b32_e32 v1, v151
	;; [unrolled: 1-line block ×4, first 2 shown]
	v_pk_add_f32 v[0:1], v[0:1], v[2:3] neg_lo:[0,1] neg_hi:[0,1]
	v_mov_b32_e32 v4, v170
	v_mov_b32_e32 v2, v1
	v_pk_add_f32 v[148:149], v[0:1], v[2:3]
	v_pk_add_f32 v[0:1], v[212:213], v[196:197]
	v_mov_b32_e32 v2, v174
	v_pk_add_f32 v[0:1], v[0:1], v[200:201]
	v_mov_b32_e32 v3, v162
	v_mov_b32_e32 v5, v166
	v_pk_add_f32 v[0:1], v[0:1], v[204:205]
	v_pk_add_f32 v[2:3], v[2:3], v[4:5] neg_lo:[0,1] neg_hi:[0,1]
	v_pk_add_f32 v[4:5], v[178:179], v[170:171]
	v_pk_add_f32 v[198:199], v[0:1], v[208:209]
	;; [unrolled: 1-line block ×4, first 2 shown]
	v_fma_f32 v23, -0.5, v0, v178
	v_mov_b32_e32 v0, v3
	v_pk_add_f32 v[4:5], v[4:5], v[162:163]
	v_pk_add_f32 v[2:3], v[2:3], v[0:1]
	;; [unrolled: 1-line block ×3, first 2 shown]
	v_fma_f32 v19, -0.5, v1, v179
	v_mov_b32_e32 v0, v175
	v_mov_b32_e32 v1, v163
	;; [unrolled: 1-line block ×4, first 2 shown]
	v_pk_add_f32 v[0:1], v[0:1], v[4:5] neg_lo:[0,1] neg_hi:[0,1]
	v_pk_add_f32 v[206:207], v[196:197], v[208:209] neg_lo:[0,1] neg_hi:[0,1]
	v_mov_b32_e32 v4, v1
	v_pk_add_f32 v[0:1], v[0:1], v[4:5]
	v_pk_add_f32 v[4:5], v[200:201], v[204:205]
	v_pk_mul_f32 v[254:255], v[206:207], s[8:9] op_sel_hi:[1,0]
	v_pk_fma_f32 v[226:227], v[4:5], 0.5, v[212:213] op_sel_hi:[1,0,1] neg_lo:[1,0,0] neg_hi:[1,0,0]
	v_pk_add_f32 v[210:211], v[200:201], v[204:205] neg_lo:[0,1] neg_hi:[0,1]
	v_pk_add_f32 v[4:5], v[196:197], v[200:201] neg_lo:[0,1] neg_hi:[0,1]
	;; [unrolled: 1-line block ×3, first 2 shown]
	v_pk_mul_f32 v[216:217], v[210:211], s[2:3] op_sel_hi:[1,0]
	v_pk_add_f32 v[4:5], v[4:5], v[6:7]
	v_pk_add_f32 v[6:7], v[226:227], v[254:255] op_sel:[0,1] op_sel_hi:[1,0] neg_lo:[0,1] neg_hi:[0,1]
	v_pk_add_f32 v[8:9], v[226:227], v[254:255] op_sel:[0,1] op_sel_hi:[1,0]
	v_pk_add_f32 v[252:253], v[6:7], v[216:217] op_sel:[0,1] op_sel_hi:[1,0] neg_lo:[0,1] neg_hi:[0,1]
	v_pk_add_f32 v[254:255], v[8:9], v[216:217] op_sel:[0,1] op_sel_hi:[1,0]
	v_mov_b32_e32 v6, v252
	v_mov_b32_e32 v7, v255
	v_pk_fma_f32 v[226:227], v[4:5], s[4:5], v[6:7] op_sel_hi:[1,0,1]
	v_pk_add_f32 v[6:7], v[174:175], v[162:163]
	v_pk_add_f32 v[8:9], v[170:171], v[166:167] neg_lo:[0,1] neg_hi:[0,1]
	v_pk_fma_f32 v[6:7], v[6:7], 0.5, v[178:179] op_sel_hi:[1,0,1] neg_lo:[1,0,0] neg_hi:[1,0,0]
	v_pk_add_f32 v[178:179], v[174:175], v[162:163] neg_lo:[0,1] neg_hi:[0,1]
	v_mov_b32_e32 v3, v9
	v_pk_mul_f32 v[12:13], v[8:9], s[8:9] op_sel_hi:[1,0]
	v_fmamk_f32 v1, v179, 0x3f737871, v23
	v_pk_mul_f32 v[2:3], v[2:3], s[4:5]
	v_pk_add_f32 v[16:17], v[6:7], v[12:13] op_sel:[0,1] op_sel_hi:[1,0]
	v_pk_mul_f32 v[216:217], v[178:179], s[2:3] op_sel_hi:[1,0]
	v_pk_add_f32 v[170:171], v[170:171], v[174:175] neg_lo:[0,1] neg_hi:[0,1]
	v_pk_add_f32 v[162:163], v[166:167], v[162:163] neg_lo:[0,1] neg_hi:[0,1]
	v_sub_f32_e32 v1, v1, v3
	v_fmac_f32_e32 v23, 0xbf737871, v179
	v_pk_add_f32 v[6:7], v[6:7], v[12:13] op_sel:[0,1] op_sel_hi:[1,0] neg_lo:[0,1] neg_hi:[0,1]
	v_pk_add_f32 v[16:17], v[216:217], v[16:17] op_sel:[1,0] op_sel_hi:[0,1]
	v_pk_add_f32 v[170:171], v[170:171], v[162:163]
	v_add_f32_e32 v166, v2, v1
	v_add_f32_e32 v1, v3, v23
	v_pk_add_f32 v[6:7], v[6:7], v[216:217] op_sel:[0,1] op_sel_hi:[1,0] neg_lo:[0,1] neg_hi:[0,1]
	v_pk_fma_f32 v[162:163], v[170:171], s[4:5], v[16:17] op_sel_hi:[1,0,1]
	v_add_f32_e32 v2, v2, v1
	v_mov_b32_e32 v16, v6
	v_mov_b32_e32 v1, v8
	v_pk_fma_f32 v[12:13], v[170:171], s[4:5], v[16:17] op_sel_hi:[1,0,1]
	v_fmamk_f32 v3, v178, 0xbf737871, v19
	v_pk_mul_f32 v[0:1], v[0:1], s[4:5]
	v_fmac_f32_e32 v19, 0x3f737871, v178
	v_add_f32_e32 v3, v1, v3
	v_sub_f32_e32 v1, v19, v1
	v_pk_mul_f32 v[16:17], v[12:13], s[2:3] op_sel_hi:[1,0]
	v_pk_fma_f32 v[170:171], v[170:171], s[4:5], v[6:7] op_sel_hi:[1,0,1]
	v_add_f32_e32 v6, v0, v3
	v_add_f32_e32 v8, v0, v1
	v_pk_fma_f32 v[0:1], v[12:13], s[10:11], v[16:17] op_sel:[0,0,1] op_sel_hi:[1,0,0] neg_lo:[0,0,1] neg_hi:[0,0,1]
	v_pk_fma_f32 v[12:13], v[12:13], s[10:11], v[16:17] op_sel:[0,0,1] op_sel_hi:[1,0,0]
	v_pk_add_f32 v[16:17], v[200:201], v[196:197] neg_lo:[0,1] neg_hi:[0,1]
	v_mov_b32_e32 v1, v13
	v_pk_add_f32 v[12:13], v[196:197], v[208:209]
	v_pk_add_f32 v[18:19], v[204:205], v[208:209] neg_lo:[0,1] neg_hi:[0,1]
	v_pk_fma_f32 v[12:13], v[12:13], 0.5, v[212:213] op_sel_hi:[1,0,1] neg_lo:[1,0,0] neg_hi:[1,0,0]
	v_pk_add_f32 v[16:17], v[16:17], v[18:19]
	v_pk_mul_f32 v[18:19], v[210:211], s[8:9] op_sel_hi:[1,0]
	v_pk_mul_f32 v[174:175], v[206:207], s[2:3] op_sel_hi:[1,0]
	v_pk_add_f32 v[178:179], v[12:13], v[18:19] op_sel:[0,1] op_sel_hi:[1,0]
	v_pk_mul_f32 v[6:7], v[6:7], s[8:9] op_sel_hi:[0,1]
	v_pk_add_f32 v[12:13], v[12:13], v[18:19] op_sel:[0,1] op_sel_hi:[1,0] neg_lo:[0,1] neg_hi:[0,1]
	v_pk_add_f32 v[18:19], v[178:179], v[174:175] op_sel:[0,1] op_sel_hi:[1,0] neg_lo:[0,1] neg_hi:[0,1]
	v_pk_fma_f32 v[178:179], v[166:167], s[16:17], v[6:7] neg_lo:[0,0,1] neg_hi:[0,0,1]
	v_pk_fma_f32 v[6:7], v[166:167], s[16:17], v[6:7] op_sel_hi:[0,1,1]
	v_pk_add_f32 v[12:13], v[12:13], v[174:175] op_sel:[0,1] op_sel_hi:[1,0]
	v_mov_b32_e32 v179, v7
	v_pk_mul_f32 v[6:7], v[8:9], s[8:9] op_sel_hi:[0,1]
	v_mov_b32_e32 v174, v18
	v_mov_b32_e32 v175, v13
	v_pk_fma_f32 v[6:7], v[2:3], s[6:7], v[6:7] op_sel_hi:[0,1,1] neg_lo:[0,0,1] neg_hi:[0,0,1]
	v_mov_b32_e32 v13, v19
	v_mov_b32_e32 v255, v253
	v_pk_mul_f32 v[2:3], v[170:171], s[2:3] op_sel:[1,0]
	v_pk_fma_f32 v[174:175], v[16:17], s[4:5], v[174:175] op_sel_hi:[1,0,1]
	v_pk_fma_f32 v[8:9], v[16:17], s[4:5], v[12:13] op_sel_hi:[1,0,1]
	;; [unrolled: 1-line block ×3, first 2 shown]
	v_pk_fma_f32 v[16:17], v[162:163], s[14:15], v[2:3] op_sel_hi:[0,1,1] neg_lo:[0,0,1] neg_hi:[0,0,1]
	v_pk_add_f32 v[2:3], v[12:13], v[16:17]
	v_pk_add_f32 v[4:5], v[198:199], v[202:203] neg_lo:[0,1] neg_hi:[0,1]
	s_barrier
	v_pk_add_f32 v[216:217], v[226:227], v[0:1]
	ds_write_b128 v125, v[2:5] offset:32
	v_pk_add_f32 v[0:1], v[226:227], v[0:1] neg_lo:[0,1] neg_hi:[0,1]
	v_pk_add_f32 v[2:3], v[174:175], v[178:179] neg_lo:[0,1] neg_hi:[0,1]
	v_pk_add_f32 v[214:215], v[198:199], v[202:203]
	v_pk_add_f32 v[204:205], v[174:175], v[178:179]
	;; [unrolled: 1-line block ×3, first 2 shown]
	ds_write_b128 v125, v[0:3] offset:48
	v_pk_add_f32 v[0:1], v[8:9], v[6:7] neg_lo:[0,1] neg_hi:[0,1]
	v_pk_add_f32 v[2:3], v[12:13], v[16:17] neg_lo:[0,1] neg_hi:[0,1]
	ds_write_b128 v125, v[214:217]
	ds_write_b128 v125, v[204:207] offset:16
	ds_write_b128 v125, v[0:3] offset:64
	ds_write_b128 v126, v[156:159]
	ds_write_b128 v126, v[180:183] offset:16
	ds_write_b128 v126, v[192:195] offset:32
	;; [unrolled: 1-line block ×4, first 2 shown]
	v_pk_add_f32 v[0:1], v[172:173], v[160:161]
	v_pk_add_f32 v[158:159], v[168:169], v[164:165] neg_lo:[0,1] neg_hi:[0,1]
	v_pk_fma_f32 v[0:1], v[0:1], 0.5, v[176:177] op_sel_hi:[1,0,1] neg_lo:[1,0,0] neg_hi:[1,0,0]
	v_pk_mul_f32 v[4:5], v[158:159], s[8:9] op_sel_hi:[1,0]
	v_pk_add_f32 v[162:163], v[172:173], v[160:161] neg_lo:[0,1] neg_hi:[0,1]
	v_pk_add_f32 v[2:3], v[168:169], v[172:173] neg_lo:[0,1] neg_hi:[0,1]
	;; [unrolled: 1-line block ×3, first 2 shown]
	v_pk_mul_f32 v[6:7], v[162:163], s[2:3] op_sel_hi:[1,0]
	v_pk_add_f32 v[2:3], v[2:3], v[8:9]
	v_pk_add_f32 v[8:9], v[0:1], v[4:5] op_sel:[0,1] op_sel_hi:[1,0] neg_lo:[0,1] neg_hi:[0,1]
	v_pk_add_f32 v[0:1], v[0:1], v[4:5] op_sel:[0,1] op_sel_hi:[1,0]
	v_pk_add_f32 v[156:157], v[8:9], v[6:7] op_sel:[0,1] op_sel_hi:[1,0] neg_lo:[0,1] neg_hi:[0,1]
	v_pk_add_f32 v[8:9], v[142:143], v[154:155] neg_lo:[0,1] neg_hi:[0,1]
	v_pk_add_f32 v[4:5], v[0:1], v[6:7] op_sel:[0,1] op_sel_hi:[1,0]
	v_pk_add_f32 v[6:7], v[146:147], v[150:151]
	v_pk_add_f32 v[18:19], v[146:147], v[150:151] neg_lo:[0,1] neg_hi:[0,1]
	v_mov_b32_e32 v153, v9
	v_mov_b32_e32 v1, v5
	v_pk_fma_f32 v[6:7], v[6:7], 0.5, v[138:139] op_sel_hi:[1,0,1] neg_lo:[1,0,0] neg_hi:[1,0,0]
	v_pk_mul_f32 v[12:13], v[8:9], s[8:9] op_sel_hi:[1,0]
	v_pk_add_f32 v[142:143], v[142:143], v[146:147] neg_lo:[0,1] neg_hi:[0,1]
	v_pk_add_f32 v[146:147], v[154:155], v[150:151] neg_lo:[0,1] neg_hi:[0,1]
	v_fmamk_f32 v5, v19, 0x3f737871, v15
	v_pk_mul_f32 v[150:151], v[152:153], s[4:5]
	v_pk_add_f32 v[16:17], v[6:7], v[12:13] op_sel:[0,1] op_sel_hi:[1,0]
	v_pk_mul_f32 v[138:139], v[18:19], s[2:3] op_sel_hi:[1,0]
	v_sub_f32_e32 v5, v5, v151
	v_fmac_f32_e32 v15, 0xbf737871, v19
	v_pk_add_f32 v[6:7], v[6:7], v[12:13] op_sel:[0,1] op_sel_hi:[1,0] neg_lo:[0,1] neg_hi:[0,1]
	v_pk_add_f32 v[16:17], v[138:139], v[16:17] op_sel:[1,0] op_sel_hi:[0,1]
	v_pk_add_f32 v[146:147], v[142:143], v[146:147]
	v_add_f32_e32 v154, v150, v5
	v_add_f32_e32 v5, v151, v15
	v_pk_add_f32 v[6:7], v[6:7], v[138:139] op_sel:[0,1] op_sel_hi:[1,0] neg_lo:[0,1] neg_hi:[0,1]
	v_mov_b32_e32 v149, v8
	v_pk_fma_f32 v[142:143], v[146:147], s[4:5], v[16:17] op_sel_hi:[1,0,1]
	v_add_f32_e32 v152, v150, v5
	v_mov_b32_e32 v16, v6
	v_pk_fma_f32 v[150:151], v[146:147], s[4:5], v[6:7] op_sel_hi:[1,0,1]
	v_fmamk_f32 v5, v18, 0xbf737871, v11
	v_pk_mul_f32 v[6:7], v[148:149], s[4:5]
	v_fmac_f32_e32 v11, 0x3f737871, v18
	v_add_f32_e32 v5, v7, v5
	v_mov_b32_e32 v0, v156
	v_pk_fma_f32 v[12:13], v[146:147], s[4:5], v[16:17] op_sel_hi:[1,0,1]
	v_add_f32_e32 v156, v6, v5
	v_sub_f32_e32 v5, v11, v7
	v_add_f32_e32 v148, v6, v5
	v_pk_mul_f32 v[6:7], v[12:13], s[2:3] op_sel_hi:[1,0]
	v_pk_fma_f32 v[0:1], v[2:3], s[4:5], v[0:1] op_sel_hi:[1,0,1]
	v_pk_fma_f32 v[146:147], v[12:13], s[10:11], v[6:7] op_sel:[0,0,1] op_sel_hi:[1,0,0] neg_lo:[0,0,1] neg_hi:[0,0,1]
	v_pk_fma_f32 v[6:7], v[12:13], s[10:11], v[6:7] op_sel:[0,0,1] op_sel_hi:[1,0,0]
	v_pk_add_f32 v[136:137], v[140:141], v[144:145]
	v_mov_b32_e32 v147, v7
	v_pk_add_f32 v[138:139], v[0:1], v[146:147]
	v_pk_add_f32 v[6:7], v[168:169], v[164:165]
	ds_write_b128 v127, v[136:139]
	v_pk_fma_f32 v[136:137], v[6:7], 0.5, v[176:177] op_sel_hi:[1,0,1] neg_lo:[1,0,0] neg_hi:[1,0,0]
	v_pk_add_f32 v[6:7], v[172:173], v[168:169] neg_lo:[0,1] neg_hi:[0,1]
	v_pk_add_f32 v[8:9], v[160:161], v[164:165] neg_lo:[0,1] neg_hi:[0,1]
	v_pk_mul_f32 v[10:11], v[158:159], s[2:3] op_sel_hi:[1,0]
	v_pk_add_f32 v[6:7], v[6:7], v[8:9]
	v_pk_mul_f32 v[8:9], v[162:163], s[8:9] op_sel_hi:[1,0]
	v_mov_b32_e32 v5, v157
	v_pk_add_f32 v[12:13], v[136:137], v[8:9] op_sel:[0,1] op_sel_hi:[1,0]
	v_pk_add_f32 v[8:9], v[136:137], v[8:9] op_sel:[0,1] op_sel_hi:[1,0] neg_lo:[0,1] neg_hi:[0,1]
	v_pk_mul_f32 v[14:15], v[156:157], s[8:9] op_sel_hi:[0,1]
	v_pk_add_f32 v[8:9], v[8:9], v[10:11] op_sel:[0,1] op_sel_hi:[1,0]
	v_pk_add_f32 v[10:11], v[12:13], v[10:11] op_sel:[0,1] op_sel_hi:[1,0] neg_lo:[0,1] neg_hi:[0,1]
	v_mov_b32_e32 v13, v9
	v_mov_b32_e32 v12, v10
	v_mov_b32_e32 v9, v11
	v_pk_fma_f32 v[12:13], v[6:7], s[4:5], v[12:13] op_sel_hi:[1,0,1]
	v_pk_fma_f32 v[6:7], v[6:7], s[4:5], v[8:9] op_sel_hi:[1,0,1]
	;; [unrolled: 1-line block ×3, first 2 shown]
	v_pk_mul_f32 v[2:3], v[150:151], s[2:3] op_sel:[1,0]
	v_pk_fma_f32 v[16:17], v[154:155], s[16:17], v[14:15] neg_lo:[0,0,1] neg_hi:[0,0,1]
	v_pk_fma_f32 v[14:15], v[154:155], s[16:17], v[14:15] op_sel_hi:[0,1,1]
	v_pk_fma_f32 v[10:11], v[142:143], s[14:15], v[2:3] op_sel_hi:[0,1,1] neg_lo:[0,0,1] neg_hi:[0,0,1]
	v_mov_b32_e32 v17, v15
	v_pk_mul_f32 v[14:15], v[148:149], s[8:9] op_sel_hi:[0,1]
	v_pk_add_f32 v[2:3], v[8:9], v[10:11]
	v_pk_add_f32 v[4:5], v[140:141], v[144:145] neg_lo:[0,1] neg_hi:[0,1]
	v_pk_fma_f32 v[14:15], v[152:153], s[6:7], v[14:15] op_sel_hi:[0,1,1] neg_lo:[0,0,1] neg_hi:[0,0,1]
	ds_write_b128 v127, v[2:5] offset:32
	v_pk_add_f32 v[0:1], v[0:1], v[146:147] neg_lo:[0,1] neg_hi:[0,1]
	v_pk_add_f32 v[2:3], v[12:13], v[16:17] neg_lo:[0,1] neg_hi:[0,1]
	v_pk_add_f32 v[136:137], v[12:13], v[16:17]
	v_pk_add_f32 v[138:139], v[6:7], v[14:15]
	ds_write_b128 v127, v[0:3] offset:48
	v_pk_add_f32 v[0:1], v[6:7], v[14:15] neg_lo:[0,1] neg_hi:[0,1]
	v_pk_add_f32 v[2:3], v[8:9], v[10:11] neg_lo:[0,1] neg_hi:[0,1]
	ds_write_b128 v127, v[136:139] offset:16
	ds_write_b128 v127, v[0:3] offset:64
	s_waitcnt lgkmcnt(0)
	s_barrier
	ds_read2_b64 v[136:139], v115 offset0:32 offset1:132
	ds_read2_b64 v[142:145], v123 offset0:8 offset1:108
	;; [unrolled: 1-line block ×3, first 2 shown]
	v_mov_b32_e32 v23, v51
	v_mov_b32_e32 v125, v39
	s_waitcnt lgkmcnt(1)
	v_pk_mul_f32 v[0:1], v[100:101], v[144:145] op_sel:[1,0]
	s_nop 0
	v_pk_fma_f32 v[140:141], v[100:101], v[144:145], v[0:1] op_sel:[0,0,1] op_sel_hi:[1,1,0]
	v_pk_fma_f32 v[0:1], v[100:101], v[144:145], v[0:1] op_sel:[0,0,1] op_sel_hi:[0,1,0] neg_lo:[0,0,1] neg_hi:[0,0,1]
	v_accvgpr_read_b32 v0, a102
	s_waitcnt lgkmcnt(0)
	v_pk_mul_f32 v[2:3], v[0:1], v[148:149] op_sel_hi:[0,1]
	v_mov_b32_e32 v141, v1
	v_pk_fma_f32 v[0:1], v[102:103], v[148:149], v[2:3] op_sel:[0,0,1] op_sel_hi:[1,1,0]
	v_pk_fma_f32 v[2:3], v[102:103], v[148:149], v[2:3] op_sel:[0,0,1] op_sel_hi:[0,1,0] neg_lo:[0,0,1] neg_hi:[0,0,1]
	v_mov_b32_e32 v1, v3
	v_pk_add_f32 v[2:3], v[140:141], v[0:1]
	s_nop 0
	v_pk_fma_f32 v[4:5], v[2:3], 0.5, v[138:139] op_sel_hi:[1,0,1] neg_lo:[1,0,0] neg_hi:[1,0,0]
	v_pk_add_f32 v[2:3], v[140:141], v[0:1] neg_lo:[0,1] neg_hi:[0,1]
	s_nop 0
	v_pk_mul_f32 v[6:7], v[2:3], s[12:13] op_sel_hi:[1,0]
	s_nop 0
	v_pk_add_f32 v[2:3], v[4:5], v[6:7] op_sel:[0,1] op_sel_hi:[1,0]
	v_pk_add_f32 v[100:101], v[4:5], v[6:7] op_sel:[0,1] op_sel_hi:[1,0] neg_lo:[0,1] neg_hi:[0,1]
	v_pk_mul_f32 v[4:5], v[96:97], v[142:143] op_sel:[1,0]
	s_nop 0
	v_pk_fma_f32 v[102:103], v[96:97], v[142:143], v[4:5] op_sel:[0,0,1] op_sel_hi:[1,1,0]
	v_pk_fma_f32 v[4:5], v[96:97], v[142:143], v[4:5] op_sel:[0,0,1] op_sel_hi:[0,1,0] neg_lo:[0,0,1] neg_hi:[0,0,1]
	v_accvgpr_read_b32 v4, a104
	v_pk_mul_f32 v[6:7], v[4:5], v[146:147] op_sel_hi:[0,1]
	v_mov_b32_e32 v103, v5
	v_pk_fma_f32 v[4:5], v[98:99], v[146:147], v[6:7] op_sel:[0,0,1] op_sel_hi:[1,1,0]
	v_pk_fma_f32 v[6:7], v[98:99], v[146:147], v[6:7] op_sel:[0,0,1] op_sel_hi:[0,1,0] neg_lo:[0,0,1] neg_hi:[0,0,1]
	ds_read2_b64 v[96:99], v59 offset0:88 offset1:188
	ds_read2_b64 v[152:155], v47 offset0:64 offset1:164
	;; [unrolled: 1-line block ×3, first 2 shown]
	v_mov_b32_e32 v5, v7
	v_pk_add_f32 v[6:7], v[102:103], v[4:5]
	v_pk_add_f32 v[8:9], v[102:103], v[4:5] neg_lo:[0,1] neg_hi:[0,1]
	v_pk_fma_f32 v[6:7], v[6:7], 0.5, v[136:137] op_sel_hi:[1,0,1] neg_lo:[1,0,0] neg_hi:[1,0,0]
	v_pk_mul_f32 v[8:9], v[8:9], s[12:13] op_sel_hi:[1,0]
	s_nop 0
	v_pk_add_f32 v[142:143], v[6:7], v[8:9] op_sel:[0,1] op_sel_hi:[1,0]
	v_pk_add_f32 v[144:145], v[6:7], v[8:9] op_sel:[0,1] op_sel_hi:[1,0] neg_lo:[0,1] neg_hi:[0,1]
	s_waitcnt lgkmcnt(1)
	v_pk_mul_f32 v[6:7], v[76:77], v[154:155] op_sel:[1,0]
	s_nop 0
	v_pk_fma_f32 v[146:147], v[76:77], v[154:155], v[6:7] op_sel:[0,0,1] op_sel_hi:[1,1,0]
	v_pk_fma_f32 v[6:7], v[76:77], v[154:155], v[6:7] op_sel:[0,0,1] op_sel_hi:[0,1,0] neg_lo:[0,0,1] neg_hi:[0,0,1]
	v_accvgpr_read_b32 v6, a106
	v_mov_b32_e32 v147, v7
	s_waitcnt lgkmcnt(0)
	v_pk_mul_f32 v[6:7], v[6:7], v[158:159] op_sel_hi:[0,1]
	v_pk_fma_f32 v[76:77], v[78:79], v[158:159], v[6:7] op_sel:[0,0,1] op_sel_hi:[1,1,0]
	v_pk_fma_f32 v[6:7], v[78:79], v[158:159], v[6:7] op_sel:[0,0,1] op_sel_hi:[0,1,0] neg_lo:[0,0,1] neg_hi:[0,0,1]
	v_mov_b32_e32 v77, v7
	v_pk_add_f32 v[6:7], v[146:147], v[76:77]
	v_pk_add_f32 v[8:9], v[146:147], v[76:77] neg_lo:[0,1] neg_hi:[0,1]
	v_pk_fma_f32 v[6:7], v[6:7], 0.5, v[98:99] op_sel_hi:[1,0,1] neg_lo:[1,0,0] neg_hi:[1,0,0]
	v_pk_mul_f32 v[8:9], v[8:9], s[12:13] op_sel_hi:[1,0]
	s_nop 0
	v_pk_add_f32 v[78:79], v[6:7], v[8:9] op_sel:[0,1] op_sel_hi:[1,0]
	v_pk_add_f32 v[148:149], v[6:7], v[8:9] op_sel:[0,1] op_sel_hi:[1,0] neg_lo:[0,1] neg_hi:[0,1]
	v_pk_mul_f32 v[6:7], v[56:57], v[152:153] op_sel:[1,0]
	s_nop 0
	v_pk_fma_f32 v[150:151], v[56:57], v[152:153], v[6:7] op_sel:[0,0,1] op_sel_hi:[1,1,0]
	v_pk_fma_f32 v[6:7], v[56:57], v[152:153], v[6:7] op_sel:[0,0,1] op_sel_hi:[0,1,0] neg_lo:[0,0,1] neg_hi:[0,0,1]
	v_accvgpr_read_b32 v6, a108
	v_mov_b32_e32 v151, v7
	v_pk_mul_f32 v[6:7], v[6:7], v[156:157] op_sel_hi:[0,1]
	v_pk_fma_f32 v[152:153], v[58:59], v[156:157], v[6:7] op_sel:[0,0,1] op_sel_hi:[1,1,0]
	v_pk_fma_f32 v[6:7], v[58:59], v[156:157], v[6:7] op_sel:[0,0,1] op_sel_hi:[0,1,0] neg_lo:[0,0,1] neg_hi:[0,0,1]
	ds_read2_b64 v[56:59], v221 offset0:144 offset1:244
	ds_read2_b64 v[164:167], v241 offset0:120 offset1:220
	v_mov_b32_e32 v153, v7
	v_pk_add_f32 v[6:7], v[150:151], v[152:153]
	v_pk_add_f32 v[8:9], v[150:151], v[152:153] neg_lo:[0,1] neg_hi:[0,1]
	ds_read2_b64 v[168:171], v51 offset0:96 offset1:196
	v_pk_fma_f32 v[6:7], v[6:7], 0.5, v[96:97] op_sel_hi:[1,0,1] neg_lo:[1,0,0] neg_hi:[1,0,0]
	v_pk_mul_f32 v[8:9], v[8:9], s[12:13] op_sel_hi:[1,0]
	s_nop 0
	v_pk_add_f32 v[154:155], v[6:7], v[8:9] op_sel:[0,1] op_sel_hi:[1,0]
	v_pk_add_f32 v[156:157], v[6:7], v[8:9] op_sel:[0,1] op_sel_hi:[1,0] neg_lo:[0,1] neg_hi:[0,1]
	s_waitcnt lgkmcnt(1)
	v_pk_mul_f32 v[6:7], v[52:53], v[166:167] op_sel:[1,0]
	s_nop 0
	v_pk_fma_f32 v[158:159], v[52:53], v[166:167], v[6:7] op_sel:[0,0,1] op_sel_hi:[1,1,0]
	v_pk_fma_f32 v[6:7], v[52:53], v[166:167], v[6:7] op_sel:[0,0,1] op_sel_hi:[0,1,0] neg_lo:[0,0,1] neg_hi:[0,0,1]
	v_accvgpr_read_b32 v6, a110
	v_mov_b32_e32 v159, v7
	s_waitcnt lgkmcnt(0)
	v_pk_mul_f32 v[6:7], v[6:7], v[170:171] op_sel_hi:[0,1]
	v_pk_fma_f32 v[52:53], v[54:55], v[170:171], v[6:7] op_sel:[0,0,1] op_sel_hi:[1,1,0]
	v_pk_fma_f32 v[6:7], v[54:55], v[170:171], v[6:7] op_sel:[0,0,1] op_sel_hi:[0,1,0] neg_lo:[0,0,1] neg_hi:[0,0,1]
	v_mov_b32_e32 v53, v7
	v_pk_add_f32 v[6:7], v[158:159], v[52:53]
	v_pk_add_f32 v[8:9], v[158:159], v[52:53] neg_lo:[0,1] neg_hi:[0,1]
	v_pk_fma_f32 v[6:7], v[6:7], 0.5, v[58:59] op_sel_hi:[1,0,1] neg_lo:[1,0,0] neg_hi:[1,0,0]
	v_pk_mul_f32 v[8:9], v[8:9], s[12:13] op_sel_hi:[1,0]
	s_nop 0
	v_pk_add_f32 v[54:55], v[6:7], v[8:9] op_sel:[0,1] op_sel_hi:[1,0]
	v_pk_add_f32 v[160:161], v[6:7], v[8:9] op_sel:[0,1] op_sel_hi:[1,0] neg_lo:[0,1] neg_hi:[0,1]
	v_pk_mul_f32 v[6:7], v[48:49], v[164:165] op_sel:[1,0]
	s_nop 0
	v_pk_fma_f32 v[162:163], v[48:49], v[164:165], v[6:7] op_sel:[0,0,1] op_sel_hi:[1,1,0]
	v_pk_fma_f32 v[6:7], v[48:49], v[164:165], v[6:7] op_sel:[0,0,1] op_sel_hi:[0,1,0] neg_lo:[0,0,1] neg_hi:[0,0,1]
	v_accvgpr_read_b32 v6, a112
	v_mov_b32_e32 v163, v7
	v_pk_mul_f32 v[6:7], v[6:7], v[168:169] op_sel_hi:[0,1]
	v_pk_fma_f32 v[164:165], v[50:51], v[168:169], v[6:7] op_sel:[0,0,1] op_sel_hi:[1,1,0]
	v_pk_fma_f32 v[6:7], v[50:51], v[168:169], v[6:7] op_sel:[0,0,1] op_sel_hi:[0,1,0] neg_lo:[0,0,1] neg_hi:[0,0,1]
	ds_read2_b64 v[48:51], v43 offset0:72 offset1:172
	ds_read2_b64 v[174:177], v131 offset0:48 offset1:148
	;; [unrolled: 1-line block ×3, first 2 shown]
	v_mov_b32_e32 v165, v7
	v_pk_add_f32 v[6:7], v[162:163], v[164:165]
	v_pk_add_f32 v[8:9], v[162:163], v[164:165] neg_lo:[0,1] neg_hi:[0,1]
	v_pk_fma_f32 v[6:7], v[6:7], 0.5, v[56:57] op_sel_hi:[1,0,1] neg_lo:[1,0,0] neg_hi:[1,0,0]
	v_pk_mul_f32 v[8:9], v[8:9], s[12:13] op_sel_hi:[1,0]
	s_nop 0
	v_pk_add_f32 v[166:167], v[6:7], v[8:9] op_sel:[0,1] op_sel_hi:[1,0]
	v_pk_add_f32 v[168:169], v[6:7], v[8:9] op_sel:[0,1] op_sel_hi:[1,0] neg_lo:[0,1] neg_hi:[0,1]
	s_waitcnt lgkmcnt(1)
	v_pk_mul_f32 v[6:7], v[44:45], v[176:177] op_sel:[1,0]
	s_nop 0
	v_pk_fma_f32 v[170:171], v[44:45], v[176:177], v[6:7] op_sel:[0,0,1] op_sel_hi:[1,1,0]
	v_pk_fma_f32 v[6:7], v[44:45], v[176:177], v[6:7] op_sel:[0,0,1] op_sel_hi:[0,1,0] neg_lo:[0,0,1] neg_hi:[0,0,1]
	v_accvgpr_read_b32 v6, a114
	v_mov_b32_e32 v171, v7
	s_waitcnt lgkmcnt(0)
	v_pk_mul_f32 v[6:7], v[6:7], v[180:181] op_sel_hi:[0,1]
	v_pk_fma_f32 v[44:45], v[46:47], v[180:181], v[6:7] op_sel:[0,0,1] op_sel_hi:[1,1,0]
	v_pk_fma_f32 v[6:7], v[46:47], v[180:181], v[6:7] op_sel:[0,0,1] op_sel_hi:[0,1,0] neg_lo:[0,0,1] neg_hi:[0,0,1]
	v_mov_b32_e32 v45, v7
	v_pk_add_f32 v[6:7], v[170:171], v[44:45]
	v_pk_add_f32 v[8:9], v[170:171], v[44:45] neg_lo:[0,1] neg_hi:[0,1]
	v_pk_fma_f32 v[6:7], v[6:7], 0.5, v[50:51] op_sel_hi:[1,0,1] neg_lo:[1,0,0] neg_hi:[1,0,0]
	v_pk_mul_f32 v[8:9], v[8:9], s[12:13] op_sel_hi:[1,0]
	s_nop 0
	v_pk_add_f32 v[46:47], v[6:7], v[8:9] op_sel:[0,1] op_sel_hi:[1,0]
	v_pk_add_f32 v[172:173], v[6:7], v[8:9] op_sel:[0,1] op_sel_hi:[1,0] neg_lo:[0,1] neg_hi:[0,1]
	v_pk_mul_f32 v[6:7], v[24:25], v[174:175] op_sel:[1,0]
	s_nop 0
	v_pk_fma_f32 v[8:9], v[24:25], v[174:175], v[6:7] op_sel:[0,0,1] op_sel_hi:[1,1,0]
	v_pk_fma_f32 v[6:7], v[24:25], v[174:175], v[6:7] op_sel:[0,0,1] op_sel_hi:[0,1,0] neg_lo:[0,0,1] neg_hi:[0,0,1]
	v_accvgpr_read_b32 v6, a116
	v_mov_b32_e32 v9, v7
	v_pk_mul_f32 v[6:7], v[6:7], v[178:179] op_sel_hi:[0,1]
	ds_read2_b64 v[174:177], v39 offset0:104 offset1:204
	v_pk_fma_f32 v[10:11], v[26:27], v[178:179], v[6:7] op_sel:[0,0,1] op_sel_hi:[1,1,0]
	v_pk_fma_f32 v[6:7], v[26:27], v[178:179], v[6:7] op_sel:[0,0,1] op_sel_hi:[0,1,0] neg_lo:[0,0,1] neg_hi:[0,0,1]
	v_mov_b32_e32 v11, v7
	v_pk_add_f32 v[6:7], v[8:9], v[10:11]
	v_pk_add_f32 v[12:13], v[8:9], v[10:11] neg_lo:[0,1] neg_hi:[0,1]
	ds_read2_b64 v[178:181], v91 offset0:80 offset1:180
	v_pk_fma_f32 v[6:7], v[6:7], 0.5, v[48:49] op_sel_hi:[1,0,1] neg_lo:[1,0,0] neg_hi:[1,0,0]
	v_pk_mul_f32 v[12:13], v[12:13], s[12:13] op_sel_hi:[1,0]
	ds_read2_b64 v[24:27], v250 offset1:100
	v_pk_add_f32 v[14:15], v[6:7], v[12:13] op_sel:[0,1] op_sel_hi:[1,0]
	v_pk_add_f32 v[6:7], v[6:7], v[12:13] op_sel:[0,1] op_sel_hi:[1,0] neg_lo:[0,1] neg_hi:[0,1]
	s_waitcnt lgkmcnt(2)
	v_pk_mul_f32 v[12:13], v[222:223], v[176:177] op_sel:[1,0]
	v_pk_mul_f32 v[126:127], v[242:243], v[174:175] op_sel:[1,0]
	v_pk_fma_f32 v[16:17], v[222:223], v[176:177], v[12:13] op_sel:[0,0,1] op_sel_hi:[1,1,0]
	v_pk_fma_f32 v[12:13], v[222:223], v[176:177], v[12:13] op_sel:[0,0,1] op_sel_hi:[0,1,0] neg_lo:[0,0,1] neg_hi:[0,0,1]
	v_pk_fma_f32 v[176:177], v[242:243], v[174:175], v[126:127] op_sel:[0,0,1] op_sel_hi:[1,1,0]
	v_pk_fma_f32 v[126:127], v[242:243], v[174:175], v[126:127] op_sel:[0,0,1] op_sel_hi:[0,1,0] neg_lo:[0,0,1] neg_hi:[0,0,1]
	v_accvgpr_read_b32 v126, a122
	v_mov_b32_e32 v177, v127
	s_waitcnt lgkmcnt(1)
	v_pk_mul_f32 v[126:127], v[126:127], v[178:179] op_sel_hi:[0,1]
	v_pk_fma_f32 v[174:175], v[244:245], v[178:179], v[126:127] op_sel:[0,0,1] op_sel_hi:[1,1,0]
	v_pk_fma_f32 v[126:127], v[244:245], v[178:179], v[126:127] op_sel:[0,0,1] op_sel_hi:[0,1,0] neg_lo:[0,0,1] neg_hi:[0,0,1]
	v_mov_b32_e32 v175, v127
	s_waitcnt lgkmcnt(0)
	v_pk_add_f32 v[126:127], v[24:25], v[176:177]
	v_accvgpr_read_b32 v12, a118
	v_pk_add_f32 v[126:127], v[126:127], v[174:175]
	v_pk_add_f32 v[178:179], v[176:177], v[174:175]
	v_pk_add_f32 v[174:175], v[176:177], v[174:175] neg_lo:[0,1] neg_hi:[0,1]
	v_mov_b32_e32 v17, v13
	v_pk_mul_f32 v[12:13], v[12:13], v[180:181] op_sel_hi:[0,1]
	v_pk_fma_f32 v[24:25], v[178:179], 0.5, v[24:25] op_sel_hi:[1,0,1] neg_lo:[1,0,0] neg_hi:[1,0,0]
	v_pk_mul_f32 v[174:175], v[174:175], s[12:13] op_sel_hi:[1,0]
	v_pk_fma_f32 v[18:19], v[224:225], v[180:181], v[12:13] op_sel:[0,0,1] op_sel_hi:[1,1,0]
	v_pk_fma_f32 v[12:13], v[224:225], v[180:181], v[12:13] op_sel:[0,0,1] op_sel_hi:[0,1,0] neg_lo:[0,0,1] neg_hi:[0,0,1]
	v_pk_add_f32 v[176:177], v[24:25], v[174:175] op_sel:[0,1] op_sel_hi:[1,0] neg_lo:[0,1] neg_hi:[0,1]
	v_pk_add_f32 v[24:25], v[24:25], v[174:175] op_sel:[0,1] op_sel_hi:[1,0]
	v_mov_b32_e32 v19, v13
	v_mov_b32_e32 v175, v25
	;; [unrolled: 1-line block ×3, first 2 shown]
	v_pk_add_f32 v[12:13], v[26:27], v[16:17]
	s_barrier
	ds_write_b64 v63, v[24:25] offset:160
	v_pk_add_f32 v[24:25], v[16:17], v[18:19]
	v_pk_add_f32 v[16:17], v[16:17], v[18:19] neg_lo:[0,1] neg_hi:[0,1]
	v_pk_fma_f32 v[24:25], v[24:25], 0.5, v[26:27] op_sel_hi:[1,0,1] neg_lo:[1,0,0] neg_hi:[1,0,0]
	v_pk_mul_f32 v[16:17], v[16:17], s[12:13] op_sel_hi:[1,0]
	v_pk_add_f32 v[12:13], v[12:13], v[18:19]
	v_pk_add_f32 v[18:19], v[24:25], v[16:17] op_sel:[0,1] op_sel_hi:[1,0] neg_lo:[0,1] neg_hi:[0,1]
	v_pk_add_f32 v[16:17], v[24:25], v[16:17] op_sel:[0,1] op_sel_hi:[1,0]
	v_pk_add_f32 v[8:9], v[48:49], v[8:9]
	v_mov_b32_e32 v174, v176
	v_mov_b32_e32 v24, v18
	;; [unrolled: 1-line block ×3, first 2 shown]
	v_accvgpr_read_b32 v18, a69
	v_mov_b32_e32 v17, v19
	v_pk_add_f32 v[8:9], v[8:9], v[10:11]
	v_mov_b32_e32 v10, v6
	v_mov_b32_e32 v11, v15
	v_accvgpr_read_b32 v6, a85
	v_mov_b32_e32 v15, v7
	ds_write2_b64 v63, v[126:127], v[174:175] offset1:10
	ds_write2_b64 v18, v[12:13], v[24:25] offset1:10
	ds_write_b64 v18, v[16:17] offset:160
	ds_write2_b64 v6, v[8:9], v[10:11] offset1:10
	ds_write_b64 v6, v[14:15] offset:160
	v_pk_add_f32 v[6:7], v[50:51], v[170:171]
	v_mov_b32_e32 v8, v172
	v_pk_add_f32 v[6:7], v[6:7], v[44:45]
	v_mov_b32_e32 v9, v47
	v_accvgpr_read_b32 v10, a68
	ds_write2_b64 v10, v[6:7], v[8:9] offset1:10
	v_mov_b32_e32 v47, v173
	v_pk_add_f32 v[6:7], v[56:57], v[162:163]
	ds_write_b64 v10, v[46:47] offset:160
	v_pk_add_f32 v[6:7], v[6:7], v[164:165]
	v_mov_b32_e32 v8, v168
	v_mov_b32_e32 v9, v167
	v_accvgpr_read_b32 v10, a83
	ds_write2_b64 v10, v[6:7], v[8:9] offset1:10
	v_mov_b32_e32 v167, v169
	v_pk_add_f32 v[6:7], v[58:59], v[158:159]
	ds_write_b64 v10, v[166:167] offset:160
	v_pk_add_f32 v[6:7], v[6:7], v[52:53]
	v_mov_b32_e32 v8, v160
	;; [unrolled: 8-line block ×4, first 2 shown]
	v_mov_b32_e32 v9, v79
	v_accvgpr_read_b32 v10, a66
	ds_write2_b64 v10, v[6:7], v[8:9] offset1:10
	v_pk_add_f32 v[6:7], v[136:137], v[102:103]
	v_mov_b32_e32 v79, v149
	v_pk_add_f32 v[4:5], v[6:7], v[4:5]
	v_mov_b32_e32 v6, v144
	v_mov_b32_e32 v7, v143
	v_accvgpr_read_b32 v8, a77
	ds_write_b64 v10, v[78:79] offset:160
	ds_write2_b64 v8, v[4:5], v[6:7] offset1:10
	v_pk_add_f32 v[4:5], v[138:139], v[140:141]
	v_mov_b32_e32 v143, v145
	v_pk_add_f32 v[0:1], v[4:5], v[0:1]
	v_mov_b32_e32 v4, v100
	v_mov_b32_e32 v5, v3
	v_accvgpr_read_b32 v6, a75
	v_mov_b32_e32 v3, v101
	ds_write_b64 v8, v[142:143] offset:160
	ds_write2_b64 v6, v[0:1], v[4:5] offset1:10
	ds_write_b64 v6, v[2:3] offset:160
	s_waitcnt lgkmcnt(0)
	s_barrier
	ds_read2_b64 v[0:3], v43 offset0:72 offset1:172
	ds_read2_b64 v[52:55], v115 offset0:32 offset1:132
	;; [unrolled: 1-line block ×4, first 2 shown]
	v_mov_b32_e32 v4, v135
	ds_read2_b64 v[24:27], v87 offset0:40 offset1:140
	s_waitcnt lgkmcnt(3)
	v_pk_mul_f32 v[4:5], v[4:5], v[52:53] op_sel_hi:[0,1]
	v_pk_fma_f32 v[150:151], v[134:135], v[52:53], v[4:5] op_sel:[0,0,1] op_sel_hi:[1,1,0]
	v_pk_fma_f32 v[4:5], v[134:135], v[52:53], v[4:5] op_sel:[0,0,1] op_sel_hi:[0,1,0] neg_lo:[0,0,1] neg_hi:[0,0,1]
	v_accvgpr_read_b32 v4, a140
	v_mov_b32_e32 v151, v5
	s_waitcnt lgkmcnt(2)
	v_pk_mul_f32 v[4:5], v[4:5], v[48:49] op_sel_hi:[0,1]
	v_pk_fma_f32 v[52:53], v[130:131], v[48:49], v[4:5] op_sel:[0,0,1] op_sel_hi:[1,1,0]
	v_pk_fma_f32 v[4:5], v[130:131], v[48:49], v[4:5] op_sel:[0,0,1] op_sel_hi:[0,1,0] neg_lo:[0,0,1] neg_hi:[0,0,1]
	v_accvgpr_read_b32 v4, a142
	v_mov_b32_e32 v53, v5
	s_waitcnt lgkmcnt(1)
	v_pk_mul_f32 v[4:5], v[4:5], v[44:45] op_sel_hi:[0,1]
	v_pk_fma_f32 v[48:49], v[82:83], v[44:45], v[4:5] op_sel:[0,0,1] op_sel_hi:[1,1,0]
	v_pk_fma_f32 v[4:5], v[82:83], v[44:45], v[4:5] op_sel:[0,0,1] op_sel_hi:[0,1,0] neg_lo:[0,0,1] neg_hi:[0,0,1]
	v_accvgpr_read_b32 v4, a146
	ds_read2_b64 v[146:149], v221 offset0:144 offset1:244
	ds_read2_b64 v[142:145], v125 offset0:104 offset1:204
	;; [unrolled: 1-line block ×5, first 2 shown]
	v_mov_b32_e32 v49, v5
	s_waitcnt lgkmcnt(5)
	v_pk_mul_f32 v[4:5], v[4:5], v[24:25] op_sel_hi:[0,1]
	v_pk_fma_f32 v[44:45], v[122:123], v[24:25], v[4:5] op_sel:[0,0,1] op_sel_hi:[1,1,0]
	v_pk_fma_f32 v[4:5], v[122:123], v[24:25], v[4:5] op_sel:[0,0,1] op_sel_hi:[0,1,0] neg_lo:[0,0,1] neg_hi:[0,0,1]
	v_mov_b32_e32 v45, v5
	v_pk_add_f32 v[4:5], v[52:53], v[48:49]
	s_waitcnt lgkmcnt(2)
	v_pk_mul_f32 v[12:13], v[80:81], v[140:141] op_sel:[1,0]
	v_pk_fma_f32 v[4:5], v[4:5], 0.5, v[0:1] op_sel_hi:[1,0,1] neg_lo:[1,0,0] neg_hi:[1,0,0]
	v_pk_add_f32 v[24:25], v[150:151], v[44:45] neg_lo:[0,1] neg_hi:[0,1]
	v_pk_add_f32 v[6:7], v[150:151], v[52:53] neg_lo:[0,1] neg_hi:[0,1]
	;; [unrolled: 1-line block ×3, first 2 shown]
	v_pk_fma_f32 v[14:15], v[80:81], v[140:141], v[12:13] op_sel:[0,0,1] op_sel_hi:[1,1,0]
	v_pk_fma_f32 v[12:13], v[80:81], v[140:141], v[12:13] op_sel:[0,0,1] op_sel_hi:[0,1,0] neg_lo:[0,0,1] neg_hi:[0,0,1]
	v_accvgpr_read_b32 v80, a130
	v_pk_add_f32 v[126:127], v[52:53], v[48:49] neg_lo:[0,1] neg_hi:[0,1]
	v_pk_add_f32 v[130:131], v[6:7], v[8:9]
	v_pk_fma_f32 v[6:7], v[24:25], s[8:9], v[4:5] op_sel:[1,0,0] op_sel_hi:[0,0,1]
	v_pk_fma_f32 v[4:5], v[24:25], s[8:9], v[4:5] op_sel:[1,0,0] op_sel_hi:[0,0,1] neg_lo:[1,0,0] neg_hi:[1,0,0]
	v_accvgpr_read_b32 v81, a131
	v_pk_fma_f32 v[152:153], v[126:127], s[2:3], v[4:5] op_sel:[1,0,0] op_sel_hi:[0,0,1] neg_lo:[1,0,0] neg_hi:[1,0,0]
	v_pk_fma_f32 v[154:155], v[126:127], s[2:3], v[6:7] op_sel:[1,0,0] op_sel_hi:[0,0,1]
	v_pk_mul_f32 v[8:9], v[128:129], v[144:145] op_sel:[1,0]
	s_waitcnt lgkmcnt(1)
	v_pk_mul_f32 v[16:17], v[120:121], v[136:137] op_sel:[1,0]
	s_waitcnt lgkmcnt(0)
	v_pk_mul_f32 v[76:77], v[80:81], v[58:59] op_sel:[1,0]
	v_mov_b32_e32 v4, v154
	v_mov_b32_e32 v5, v153
	v_pk_fma_f32 v[10:11], v[128:129], v[144:145], v[8:9] op_sel:[0,0,1] op_sel_hi:[1,1,0]
	v_pk_fma_f32 v[18:19], v[120:121], v[136:137], v[16:17] op_sel:[0,0,1] op_sel_hi:[1,1,0]
	;; [unrolled: 1-line block ×3, first 2 shown]
	v_pk_fma_f32 v[156:157], v[130:131], s[4:5], v[4:5] op_sel_hi:[1,0,1]
	v_pk_mul_f32 v[4:5], v[132:133], v[148:149] op_sel:[1,0]
	v_mov_b32_e32 v96, v10
	v_mov_b32_e32 v97, v78
	;; [unrolled: 1-line block ×4, first 2 shown]
	v_pk_fma_f32 v[6:7], v[132:133], v[148:149], v[4:5] op_sel:[0,0,1] op_sel_hi:[0,1,0]
	v_pk_fma_f32 v[4:5], v[132:133], v[148:149], v[4:5] op_sel:[0,0,1] op_sel_hi:[0,1,0] neg_lo:[0,0,1] neg_hi:[0,0,1]
	v_pk_fma_f32 v[16:17], v[120:121], v[136:137], v[16:17] op_sel:[0,0,1] op_sel_hi:[0,1,0] neg_lo:[0,0,1] neg_hi:[0,0,1]
	v_pk_add_f32 v[100:101], v[96:97], v[98:99] neg_lo:[0,1] neg_hi:[0,1]
	v_pk_fma_f32 v[8:9], v[128:129], v[144:145], v[8:9] op_sel:[0,0,1] op_sel_hi:[0,1,0] neg_lo:[0,0,1] neg_hi:[0,0,1]
	v_mov_b32_e32 v15, v13
	v_mov_b32_e32 v19, v17
	v_pk_fma_f32 v[76:77], v[80:81], v[58:59], v[76:77] op_sel:[0,0,1] op_sel_hi:[0,1,0] neg_lo:[0,0,1] neg_hi:[0,0,1]
	v_mov_b32_e32 v4, v101
	v_mov_b32_e32 v11, v9
	;; [unrolled: 1-line block ×3, first 2 shown]
	v_pk_add_f32 v[58:59], v[14:15], v[18:19]
	v_pk_add_f32 v[82:83], v[14:15], v[18:19] neg_lo:[0,1] neg_hi:[0,1]
	v_pk_add_f32 v[100:101], v[100:101], v[4:5]
	v_fma_f32 v8, -0.5, v58, v6
	v_pk_add_f32 v[80:81], v[10:11], v[78:79] neg_lo:[0,1] neg_hi:[0,1]
	v_mov_b32_e32 v101, v83
	v_fmamk_f32 v12, v81, 0xbf737871, v8
	v_pk_mul_f32 v[100:101], v[100:101], s[4:5]
	v_fmac_f32_e32 v8, 0x3f737871, v81
	v_sub_f32_e32 v4, v12, v101
	v_pk_add_f32 v[96:97], v[98:99], v[96:97] neg_lo:[0,1] neg_hi:[0,1]
	v_add_f32_e32 v132, v100, v4
	v_add_f32_e32 v4, v101, v8
	v_mov_b32_e32 v8, v97
	v_mov_b32_e32 v7, v5
	v_add_f32_e32 v4, v100, v4
	v_pk_add_f32 v[100:101], v[10:11], v[78:79]
	v_mov_b32_e32 v12, v6
	v_pk_add_f32 v[96:97], v[96:97], v[8:9]
	v_fmac_f32_e32 v12, -0.5, v100
	v_mov_b32_e32 v97, v81
	v_pk_add_f32 v[6:7], v[6:7], v[10:11]
	v_fmamk_f32 v16, v83, 0x3f737871, v12
	v_pk_mul_f32 v[96:97], v[96:97], s[4:5]
	v_pk_add_f32 v[6:7], v[6:7], v[14:15]
	v_sub_f32_e32 v8, v16, v97
	v_fmac_f32_e32 v12, 0xbf737871, v83
	v_pk_add_f32 v[6:7], v[6:7], v[18:19]
	v_mov_b32_e32 v76, v9
	v_mov_b32_e32 v16, v13
	v_add_f32_e32 v58, v96, v8
	v_add_f32_e32 v8, v97, v12
	v_pk_add_f32 v[160:161], v[6:7], v[78:79]
	v_pk_add_f32 v[6:7], v[76:77], v[16:17] neg_lo:[0,1] neg_hi:[0,1]
	v_add_f32_e32 v136, v96, v8
	v_mov_b32_e32 v8, v7
	v_pk_add_f32 v[6:7], v[6:7], v[8:9]
	v_fma_f32 v10, -0.5, v59, v5
	v_mov_b32_e32 v7, v82
	v_fmamk_f32 v11, v80, 0x3f737871, v10
	v_pk_mul_f32 v[6:7], v[6:7], s[4:5]
	v_fmac_f32_e32 v10, 0xbf737871, v80
	v_add_f32_e32 v8, v7, v11
	v_add_f32_e32 v140, v6, v8
	v_pk_add_f32 v[8:9], v[16:17], v[76:77] neg_lo:[0,1] neg_hi:[0,1]
	v_sub_f32_e32 v7, v10, v7
	v_mov_b32_e32 v10, v9
	v_pk_add_f32 v[8:9], v[8:9], v[10:11]
	v_fmac_f32_e32 v5, -0.5, v101
	v_mov_b32_e32 v9, v80
	v_add_f32_e32 v6, v6, v7
	v_fmamk_f32 v7, v82, 0xbf737871, v5
	v_pk_mul_f32 v[8:9], v[8:9], s[4:5]
	v_fmac_f32_e32 v5, 0x3f737871, v82
	v_add_f32_e32 v7, v9, v7
	ds_read2_b64 v[16:19], v250 offset1:100
	ds_read2_b64 v[120:123], v35 offset0:88 offset1:188
	v_add_f32_e32 v128, v8, v7
	v_sub_f32_e32 v5, v5, v9
	v_pk_mul_f32 v[6:7], v[6:7], s[2:3] op_sel_hi:[0,1]
	v_add_f32_e32 v144, v8, v5
	v_pk_fma_f32 v[148:149], v[4:5], s[14:15], v[6:7] op_sel_hi:[0,1,1] neg_lo:[0,0,1] neg_hi:[0,0,1]
	v_pk_mul_f32 v[4:5], v[116:117], v[146:147] op_sel:[1,0]
	ds_read2_b64 v[100:103], v31 offset0:48 offset1:148
	v_pk_fma_f32 v[164:165], v[116:117], v[146:147], v[4:5] op_sel:[0,0,1] op_sel_hi:[0,1,0]
	v_pk_fma_f32 v[4:5], v[116:117], v[146:147], v[4:5] op_sel:[0,0,1] op_sel_hi:[0,1,0] neg_lo:[0,0,1] neg_hi:[0,0,1]
	v_mov_b32_e32 v4, v119
	s_waitcnt lgkmcnt(1)
	v_pk_mul_f32 v[6:7], v[4:5], v[122:123] op_sel_hi:[0,1]
	v_pk_fma_f32 v[116:117], v[118:119], v[122:123], v[6:7] op_sel:[0,0,1] op_sel_hi:[1,1,0]
	v_pk_fma_f32 v[6:7], v[118:119], v[122:123], v[6:7] op_sel:[0,0,1] op_sel_hi:[0,1,0] neg_lo:[0,0,1] neg_hi:[0,0,1]
	ds_read2_b64 v[96:99], v246 offset0:8 offset1:108
	ds_read2_b64 v[76:79], v23 offset0:96 offset1:196
	v_mov_b32_e32 v117, v7
	v_pk_mul_f32 v[6:7], v[112:113], v[142:143] op_sel:[1,0]
	v_accvgpr_read_b32 v4, a144
	v_pk_fma_f32 v[146:147], v[112:113], v[142:143], v[6:7] op_sel:[0,0,1] op_sel_hi:[1,1,0]
	v_pk_fma_f32 v[118:119], v[112:113], v[142:143], v[6:7] op_sel:[0,0,1] op_sel_hi:[0,1,0] neg_lo:[0,0,1] neg_hi:[0,0,1]
	s_waitcnt lgkmcnt(2)
	v_pk_mul_f32 v[6:7], v[4:5], v[102:103] op_sel_hi:[0,1]
	v_pk_fma_f32 v[112:113], v[114:115], v[102:103], v[6:7] op_sel:[0,0,1] op_sel_hi:[1,1,0]
	v_pk_fma_f32 v[6:7], v[114:115], v[102:103], v[6:7] op_sel:[0,0,1] op_sel_hi:[0,1,0] neg_lo:[0,0,1] neg_hi:[0,0,1]
	v_mov_b32_e32 v113, v7
	v_pk_mul_f32 v[6:7], v[108:109], v[138:139] op_sel:[1,0]
	v_mov_b32_e32 v4, v111
	v_pk_fma_f32 v[142:143], v[108:109], v[138:139], v[6:7] op_sel:[0,0,1] op_sel_hi:[1,1,0]
	v_pk_fma_f32 v[108:109], v[108:109], v[138:139], v[6:7] op_sel:[0,0,1] op_sel_hi:[0,1,0] neg_lo:[0,0,1] neg_hi:[0,0,1]
	s_waitcnt lgkmcnt(1)
	v_pk_mul_f32 v[6:7], v[4:5], v[98:99] op_sel_hi:[0,1]
	v_pk_fma_f32 v[102:103], v[110:111], v[98:99], v[6:7] op_sel:[0,0,1] op_sel_hi:[1,1,0]
	v_pk_fma_f32 v[6:7], v[110:111], v[98:99], v[6:7] op_sel:[0,0,1] op_sel_hi:[0,1,0] neg_lo:[0,0,1] neg_hi:[0,0,1]
	v_mov_b32_e32 v103, v7
	v_pk_mul_f32 v[6:7], v[104:105], v[134:135] op_sel:[1,0]
	v_accvgpr_read_b32 v4, a150
	v_pk_add_f32 v[8:9], v[0:1], v[150:151]
	v_pk_fma_f32 v[138:139], v[104:105], v[134:135], v[6:7] op_sel:[0,0,1] op_sel_hi:[1,1,0]
	v_pk_fma_f32 v[110:111], v[104:105], v[134:135], v[6:7] op_sel:[0,0,1] op_sel_hi:[0,1,0] neg_lo:[0,0,1] neg_hi:[0,0,1]
	s_waitcnt lgkmcnt(0)
	v_pk_mul_f32 v[6:7], v[4:5], v[78:79] op_sel_hi:[0,1]
	v_accvgpr_read_b32 v10, a124
	v_pk_add_f32 v[8:9], v[8:9], v[52:53]
	v_pk_fma_f32 v[98:99], v[106:107], v[78:79], v[6:7] op_sel:[0,0,1] op_sel_hi:[1,1,0]
	v_pk_fma_f32 v[6:7], v[106:107], v[78:79], v[6:7] op_sel:[0,0,1] op_sel_hi:[0,1,0] neg_lo:[0,0,1] neg_hi:[0,0,1]
	v_accvgpr_read_b32 v11, a125
	v_pk_add_f32 v[8:9], v[8:9], v[48:49]
	v_mov_b32_e32 v99, v7
	v_pk_mul_f32 v[6:7], v[10:11], v[56:57] op_sel:[1,0]
	v_pk_add_f32 v[162:163], v[8:9], v[44:45]
	v_pk_fma_f32 v[8:9], v[10:11], v[56:57], v[6:7] op_sel:[0,0,1] op_sel_hi:[1,1,0]
	v_pk_fma_f32 v[6:7], v[10:11], v[56:57], v[6:7] op_sel:[0,0,1] op_sel_hi:[0,1,0] neg_lo:[0,0,1] neg_hi:[0,0,1]
	v_pk_add_f32 v[10:11], v[18:19], v[116:117]
	v_mov_b32_e32 v80, v146
	v_mov_b32_e32 v81, v8
	;; [unrolled: 1-line block ×4, first 2 shown]
	v_pk_add_f32 v[10:11], v[10:11], v[112:113]
	v_pk_add_f32 v[78:79], v[80:81], v[82:83] neg_lo:[0,1] neg_hi:[0,1]
	v_mov_b32_e32 v143, v109
	v_mov_b32_e32 v139, v111
	v_pk_add_f32 v[10:11], v[10:11], v[102:103]
	v_mov_b32_e32 v4, v79
	v_mov_b32_e32 v147, v119
	;; [unrolled: 1-line block ×3, first 2 shown]
	v_pk_add_f32 v[56:57], v[10:11], v[98:99]
	v_pk_add_f32 v[10:11], v[142:143], v[138:139]
	v_pk_add_f32 v[14:15], v[142:143], v[138:139] neg_lo:[0,1] neg_hi:[0,1]
	v_pk_add_f32 v[78:79], v[78:79], v[4:5]
	v_fma_f32 v6, -0.5, v10, v164
	v_pk_add_f32 v[12:13], v[146:147], v[8:9] neg_lo:[0,1] neg_hi:[0,1]
	v_mov_b32_e32 v79, v15
	v_fmamk_f32 v10, v13, 0xbf737871, v6
	v_pk_mul_f32 v[78:79], v[78:79], s[4:5]
	v_fmac_f32_e32 v6, 0x3f737871, v13
	v_sub_f32_e32 v4, v10, v79
	v_add_f32_e32 v122, v78, v4
	v_add_f32_e32 v4, v79, v6
	v_pk_add_f32 v[80:81], v[82:83], v[80:81] neg_lo:[0,1] neg_hi:[0,1]
	v_add_f32_e32 v78, v78, v4
	v_mov_b32_e32 v4, v81
	v_pk_add_f32 v[134:135], v[146:147], v[8:9]
	v_mov_b32_e32 v6, v164
	v_pk_add_f32 v[80:81], v[80:81], v[4:5]
	v_fmac_f32_e32 v6, -0.5, v134
	v_mov_b32_e32 v81, v13
	v_fmamk_f32 v10, v15, 0x3f737871, v6
	v_pk_mul_f32 v[80:81], v[80:81], s[4:5]
	v_fmac_f32_e32 v6, 0xbf737871, v15
	v_sub_f32_e32 v4, v10, v81
	v_mov_b32_e32 v165, v5
	v_add_f32_e32 v114, v80, v4
	v_add_f32_e32 v4, v81, v6
	;; [unrolled: 1-line block ×3, first 2 shown]
	v_pk_add_f32 v[80:81], v[164:165], v[146:147]
	v_mov_b32_e32 v6, v119
	v_pk_add_f32 v[80:81], v[80:81], v[142:143]
	v_mov_b32_e32 v110, v109
	v_pk_add_f32 v[80:81], v[80:81], v[138:139]
	v_fma_f32 v10, -0.5, v11, v5
	v_pk_add_f32 v[104:105], v[80:81], v[8:9]
	v_pk_add_f32 v[8:9], v[6:7], v[110:111] neg_lo:[0,1] neg_hi:[0,1]
	v_fmamk_f32 v11, v12, 0x3f737871, v10
	v_mov_b32_e32 v4, v9
	v_pk_add_f32 v[8:9], v[8:9], v[4:5]
	v_fmac_f32_e32 v10, 0xbf737871, v12
	v_mov_b32_e32 v9, v14
	v_pk_mul_f32 v[8:9], v[8:9], s[4:5]
	v_pk_add_f32 v[6:7], v[110:111], v[6:7] neg_lo:[0,1] neg_hi:[0,1]
	v_add_f32_e32 v4, v9, v11
	v_add_f32_e32 v138, v8, v4
	v_sub_f32_e32 v4, v10, v9
	v_add_f32_e32 v106, v8, v4
	v_fmac_f32_e32 v5, -0.5, v135
	v_mov_b32_e32 v4, v7
	v_pk_add_f32 v[6:7], v[6:7], v[4:5]
	v_fmamk_f32 v8, v14, 0xbf737871, v5
	v_mov_b32_e32 v7, v12
	v_pk_mul_f32 v[6:7], v[6:7], s[4:5]
	v_fmac_f32_e32 v5, 0x3f737871, v14
	v_add_f32_e32 v4, v7, v8
	v_add_f32_e32 v118, v6, v4
	v_sub_f32_e32 v4, v5, v7
	v_add_f32_e32 v110, v6, v4
	v_pk_mul_f32 v[4:5], v[92:93], v[2:3] op_sel:[1,0]
	v_mov_b32_e32 v39, v91
	v_pk_fma_f32 v[142:143], v[92:93], v[2:3], v[4:5] op_sel:[0,0,1] op_sel_hi:[0,1,0]
	v_pk_fma_f32 v[92:93], v[92:93], v[2:3], v[4:5] op_sel:[0,0,1] op_sel_hi:[0,1,0] neg_lo:[0,0,1] neg_hi:[0,0,1]
	v_mov_b32_e32 v2, v95
	v_pk_mul_f32 v[4:5], v[2:3], v[120:121] op_sel_hi:[0,1]
	v_pk_fma_f32 v[2:3], v[94:95], v[120:121], v[4:5] op_sel:[0,0,1] op_sel_hi:[1,1,0]
	v_pk_fma_f32 v[4:5], v[94:95], v[120:121], v[4:5] op_sel:[0,0,1] op_sel_hi:[0,1,0] neg_lo:[0,0,1] neg_hi:[0,0,1]
	v_mov_b32_e32 v3, v5
	v_pk_mul_f32 v[4:5], v[88:89], v[54:55] op_sel:[1,0]
	v_mov_b32_e32 v168, v91
	v_pk_fma_f32 v[94:95], v[88:89], v[54:55], v[4:5] op_sel:[0,0,1] op_sel_hi:[1,1,0]
	v_pk_fma_f32 v[88:89], v[88:89], v[54:55], v[4:5] op_sel:[0,0,1] op_sel_hi:[0,1,0] neg_lo:[0,0,1] neg_hi:[0,0,1]
	v_accvgpr_read_b32 v4, a128
	v_pk_mul_f32 v[4:5], v[4:5], v[100:101] op_sel_hi:[0,1]
	v_pk_fma_f32 v[54:55], v[90:91], v[100:101], v[4:5] op_sel:[0,0,1] op_sel_hi:[1,1,0]
	v_pk_fma_f32 v[4:5], v[90:91], v[100:101], v[4:5] op_sel:[0,0,1] op_sel_hi:[0,1,0] neg_lo:[0,0,1] neg_hi:[0,0,1]
	v_mov_b32_e32 v55, v5
	v_pk_mul_f32 v[4:5], v[84:85], v[50:51] op_sel:[1,0]
	v_accvgpr_read_b32 v6, a120
	v_pk_fma_f32 v[90:91], v[84:85], v[50:51], v[4:5] op_sel:[0,0,1] op_sel_hi:[1,1,0]
	v_pk_fma_f32 v[84:85], v[84:85], v[50:51], v[4:5] op_sel:[0,0,1] op_sel_hi:[0,1,0] neg_lo:[0,0,1] neg_hi:[0,0,1]
	v_accvgpr_read_b32 v4, a132
	v_pk_mul_f32 v[4:5], v[4:5], v[96:97] op_sel_hi:[0,1]
	v_pk_fma_f32 v[50:51], v[86:87], v[96:97], v[4:5] op_sel:[0,0,1] op_sel_hi:[1,1,0]
	v_pk_fma_f32 v[4:5], v[86:87], v[96:97], v[4:5] op_sel:[0,0,1] op_sel_hi:[0,1,0] neg_lo:[0,0,1] neg_hi:[0,0,1]
	v_mov_b32_e32 v51, v5
	v_pk_mul_f32 v[4:5], v[218:219], v[46:47] op_sel:[1,0]
	v_accvgpr_read_b32 v7, a121
	v_pk_fma_f32 v[86:87], v[218:219], v[46:47], v[4:5] op_sel:[0,0,1] op_sel_hi:[1,1,0]
	v_pk_fma_f32 v[80:81], v[218:219], v[46:47], v[4:5] op_sel:[0,0,1] op_sel_hi:[0,1,0] neg_lo:[0,0,1] neg_hi:[0,0,1]
	v_accvgpr_read_b32 v4, a134
	v_pk_mul_f32 v[4:5], v[4:5], v[76:77] op_sel_hi:[0,1]
	v_pk_fma_f32 v[46:47], v[220:221], v[76:77], v[4:5] op_sel:[0,0,1] op_sel_hi:[1,1,0]
	v_pk_fma_f32 v[4:5], v[220:221], v[76:77], v[4:5] op_sel:[0,0,1] op_sel_hi:[0,1,0] neg_lo:[0,0,1] neg_hi:[0,0,1]
	v_mov_b32_e32 v47, v5
	v_pk_mul_f32 v[4:5], v[6:7], v[26:27] op_sel:[1,0]
	v_mov_b32_e32 v91, v85
	v_pk_fma_f32 v[120:121], v[6:7], v[26:27], v[4:5] op_sel:[0,0,1] op_sel_hi:[1,1,0]
	v_pk_fma_f32 v[82:83], v[6:7], v[26:27], v[4:5] op_sel:[0,0,1] op_sel_hi:[0,1,0] neg_lo:[0,0,1] neg_hi:[0,0,1]
	v_pk_add_f32 v[4:5], v[16:17], v[2:3]
	v_mov_b32_e32 v87, v81
	v_pk_add_f32 v[4:5], v[4:5], v[54:55]
	v_mov_b32_e32 v6, v94
	;; [unrolled: 2-line block ×3, first 2 shown]
	v_mov_b32_e32 v8, v90
	v_mov_b32_e32 v9, v86
	v_pk_add_f32 v[26:27], v[4:5], v[46:47]
	v_pk_add_f32 v[4:5], v[90:91], v[86:87]
	v_pk_add_f32 v[10:11], v[6:7], v[8:9] neg_lo:[0,1] neg_hi:[0,1]
	v_fma_f32 v12, -0.5, v4, v142
	v_mov_b32_e32 v4, v11
	v_mov_b32_e32 v95, v89
	;; [unrolled: 1-line block ×3, first 2 shown]
	v_pk_add_f32 v[96:97], v[90:91], v[86:87] neg_lo:[0,1] neg_hi:[0,1]
	v_pk_add_f32 v[10:11], v[10:11], v[4:5]
	v_pk_add_f32 v[100:101], v[94:95], v[120:121] neg_lo:[0,1] neg_hi:[0,1]
	v_mov_b32_e32 v11, v97
	v_fmamk_f32 v13, v101, 0xbf737871, v12
	v_pk_mul_f32 v[10:11], v[10:11], s[4:5]
	v_fmac_f32_e32 v12, 0x3f737871, v101
	v_sub_f32_e32 v4, v13, v11
	v_pk_add_f32 v[6:7], v[8:9], v[6:7] neg_lo:[0,1] neg_hi:[0,1]
	v_add_f32_e32 v92, v10, v4
	v_add_f32_e32 v4, v11, v12
	v_mov_b32_e32 v8, v7
	v_add_f32_e32 v4, v10, v4
	v_pk_add_f32 v[10:11], v[94:95], v[120:121]
	v_mov_b32_e32 v12, v142
	v_pk_add_f32 v[6:7], v[6:7], v[8:9]
	v_fmac_f32_e32 v12, -0.5, v10
	v_mov_b32_e32 v7, v101
	v_fmamk_f32 v10, v97, 0x3f737871, v12
	v_pk_mul_f32 v[6:7], v[6:7], s[4:5]
	v_fmac_f32_e32 v12, 0xbf737871, v97
	v_mov_b32_e32 v143, v93
	v_sub_f32_e32 v8, v10, v7
	v_add_f32_e32 v7, v7, v12
	v_add_f32_e32 v84, v6, v8
	;; [unrolled: 1-line block ×3, first 2 shown]
	v_pk_add_f32 v[6:7], v[142:143], v[94:95]
	v_mov_b32_e32 v82, v89
	v_pk_add_f32 v[6:7], v[6:7], v[90:91]
	v_mov_b32_e32 v80, v85
	v_pk_add_f32 v[6:7], v[6:7], v[86:87]
	v_fma_f32 v5, -0.5, v5, v93
	v_pk_add_f32 v[86:87], v[6:7], v[120:121]
	v_pk_add_f32 v[6:7], v[82:83], v[80:81] neg_lo:[0,1] neg_hi:[0,1]
	v_fmamk_f32 v9, v100, 0x3f737871, v5
	v_mov_b32_e32 v8, v7
	v_pk_add_f32 v[6:7], v[6:7], v[8:9]
	v_fmac_f32_e32 v5, 0xbf737871, v100
	v_mov_b32_e32 v7, v96
	v_pk_mul_f32 v[6:7], v[6:7], s[4:5]
	v_fmac_f32_e32 v93, -0.5, v11
	v_add_f32_e32 v8, v7, v9
	v_sub_f32_e32 v5, v5, v7
	v_add_f32_e32 v8, v6, v8
	v_add_f32_e32 v88, v6, v5
	v_pk_add_f32 v[6:7], v[80:81], v[82:83] neg_lo:[0,1] neg_hi:[0,1]
	v_pk_add_f32 v[82:83], v[2:3], v[46:47] neg_lo:[0,1] neg_hi:[0,1]
	v_mov_b32_e32 v10, v7
	v_pk_add_f32 v[6:7], v[6:7], v[10:11]
	v_pk_add_f32 v[10:11], v[54:55], v[50:51]
	v_fmamk_f32 v5, v96, 0xbf737871, v93
	v_mov_b32_e32 v7, v100
	v_fmac_f32_e32 v93, 0x3f737871, v96
	v_pk_fma_f32 v[10:11], v[10:11], 0.5, v[16:17] op_sel_hi:[1,0,1] neg_lo:[1,0,0] neg_hi:[1,0,0]
	v_pk_mul_f32 v[12:13], v[82:83], s[8:9] op_sel_hi:[1,0]
	v_pk_add_f32 v[94:95], v[54:55], v[50:51] neg_lo:[0,1] neg_hi:[0,1]
	v_pk_add_f32 v[96:97], v[2:3], v[54:55] neg_lo:[0,1] neg_hi:[0,1]
	;; [unrolled: 1-line block ×3, first 2 shown]
	v_pk_mul_f32 v[14:15], v[94:95], s[2:3] op_sel_hi:[1,0]
	v_pk_add_f32 v[96:97], v[96:97], v[100:101]
	v_pk_add_f32 v[100:101], v[10:11], v[12:13] op_sel:[0,1] op_sel_hi:[1,0] neg_lo:[0,1] neg_hi:[0,1]
	v_pk_add_f32 v[10:11], v[10:11], v[12:13] op_sel:[0,1] op_sel_hi:[1,0]
	v_pk_add_f32 v[142:143], v[100:101], v[14:15] op_sel:[0,1] op_sel_hi:[1,0] neg_lo:[0,1] neg_hi:[0,1]
	v_pk_add_f32 v[120:121], v[10:11], v[14:15] op_sel:[0,1] op_sel_hi:[1,0]
	v_pk_mul_f32 v[6:7], v[6:7], s[4:5]
	v_mov_b32_e32 v10, v142
	v_mov_b32_e32 v11, v121
	v_pk_mul_f32 v[8:9], v[8:9], s[2:3] op_sel_hi:[0,1]
	v_add_f32_e32 v5, v7, v5
	v_pk_fma_f32 v[100:101], v[96:97], s[4:5], v[10:11] op_sel_hi:[1,0,1]
	v_pk_fma_f32 v[10:11], v[92:93], s[10:11], v[8:9] neg_lo:[0,0,1] neg_hi:[0,0,1]
	v_pk_fma_f32 v[8:9], v[92:93], s[10:11], v[8:9] op_sel_hi:[0,1,1]
	v_add_f32_e32 v90, v6, v5
	v_sub_f32_e32 v5, v93, v7
	v_mov_b32_e32 v11, v9
	v_add_f32_e32 v80, v6, v5
	v_pk_add_f32 v[6:7], v[26:27], v[86:87]
	v_pk_add_f32 v[8:9], v[100:101], v[10:11]
	s_barrier
	ds_write2_b64 v251, v[6:7], v[8:9] offset1:30
	v_pk_add_f32 v[6:7], v[2:3], v[46:47]
	v_pk_add_f32 v[2:3], v[54:55], v[2:3] neg_lo:[0,1] neg_hi:[0,1]
	v_pk_add_f32 v[8:9], v[50:51], v[46:47] neg_lo:[0,1] neg_hi:[0,1]
	v_pk_fma_f32 v[6:7], v[6:7], 0.5, v[16:17] op_sel_hi:[1,0,1] neg_lo:[1,0,0] neg_hi:[1,0,0]
	v_pk_add_f32 v[2:3], v[2:3], v[8:9]
	v_pk_mul_f32 v[8:9], v[90:91], s[8:9] op_sel_hi:[0,1]
	v_pk_fma_f32 v[12:13], v[84:85], s[16:17], v[8:9] neg_lo:[0,0,1] neg_hi:[0,0,1]
	v_pk_fma_f32 v[8:9], v[84:85], s[16:17], v[8:9] op_sel_hi:[0,1,1]
	v_mov_b32_e32 v13, v9
	v_pk_mul_f32 v[8:9], v[94:95], s[8:9] op_sel_hi:[1,0]
	v_pk_mul_f32 v[14:15], v[82:83], s[2:3] op_sel_hi:[1,0]
	v_pk_add_f32 v[16:17], v[6:7], v[8:9] op_sel:[0,1] op_sel_hi:[1,0]
	v_pk_add_f32 v[6:7], v[6:7], v[8:9] op_sel:[0,1] op_sel_hi:[1,0] neg_lo:[0,1] neg_hi:[0,1]
	v_pk_add_f32 v[8:9], v[16:17], v[14:15] op_sel:[0,1] op_sel_hi:[1,0] neg_lo:[0,1] neg_hi:[0,1]
	v_pk_add_f32 v[6:7], v[6:7], v[14:15] op_sel:[0,1] op_sel_hi:[1,0]
	v_mov_b32_e32 v14, v8
	v_mov_b32_e32 v15, v7
	v_pk_mul_f32 v[46:47], v[80:81], s[8:9] op_sel_hi:[0,1]
	v_mov_b32_e32 v7, v9
	v_pk_fma_f32 v[14:15], v[2:3], s[4:5], v[14:15] op_sel_hi:[1,0,1]
	v_pk_fma_f32 v[46:47], v[76:77], s[6:7], v[46:47] op_sel_hi:[0,1,1] neg_lo:[0,0,1] neg_hi:[0,0,1]
	v_pk_fma_f32 v[2:3], v[2:3], s[4:5], v[6:7] op_sel_hi:[1,0,1]
	v_pk_add_f32 v[16:17], v[14:15], v[12:13]
	v_pk_add_f32 v[6:7], v[2:3], v[46:47]
	ds_write2_b64 v251, v[16:17], v[6:7] offset0:60 offset1:90
	v_pk_mul_f32 v[6:7], v[88:89], s[2:3] op_sel_hi:[0,1]
	v_mov_b32_e32 v121, v143
	v_pk_fma_f32 v[4:5], v[4:5], s[14:15], v[6:7] op_sel_hi:[0,1,1] neg_lo:[0,0,1] neg_hi:[0,0,1]
	v_pk_fma_f32 v[6:7], v[96:97], s[4:5], v[120:121] op_sel_hi:[1,0,1]
	v_pk_add_f32 v[2:3], v[2:3], v[46:47] neg_lo:[0,1] neg_hi:[0,1]
	v_pk_add_f32 v[8:9], v[6:7], v[4:5]
	v_pk_add_f32 v[4:5], v[6:7], v[4:5] neg_lo:[0,1] neg_hi:[0,1]
	v_pk_add_f32 v[16:17], v[26:27], v[86:87] neg_lo:[0,1] neg_hi:[0,1]
	ds_write2_b64 v107, v[2:3], v[4:5] offset0:112 offset1:142
	v_pk_add_f32 v[2:3], v[112:113], v[102:103]
	ds_write2_b64 v251, v[8:9], v[16:17] offset0:120 offset1:150
	v_pk_add_f32 v[8:9], v[100:101], v[10:11] neg_lo:[0,1] neg_hi:[0,1]
	v_pk_add_f32 v[10:11], v[14:15], v[12:13] neg_lo:[0,1] neg_hi:[0,1]
	v_pk_fma_f32 v[6:7], v[2:3], 0.5, v[18:19] op_sel_hi:[1,0,1] neg_lo:[1,0,0] neg_hi:[1,0,0]
	v_pk_add_f32 v[2:3], v[116:117], v[98:99] neg_lo:[0,1] neg_hi:[0,1]
	ds_write2_b64 v251, v[8:9], v[10:11] offset0:180 offset1:210
	v_pk_mul_f32 v[8:9], v[2:3], s[8:9] op_sel_hi:[1,0]
	v_pk_add_f32 v[4:5], v[112:113], v[102:103] neg_lo:[0,1] neg_hi:[0,1]
	v_pk_add_f32 v[12:13], v[116:117], v[112:113] neg_lo:[0,1] neg_hi:[0,1]
	;; [unrolled: 1-line block ×3, first 2 shown]
	v_pk_mul_f32 v[10:11], v[4:5], s[2:3] op_sel_hi:[1,0]
	v_pk_add_f32 v[16:17], v[12:13], v[14:15]
	v_pk_add_f32 v[12:13], v[6:7], v[8:9] op_sel:[0,1] op_sel_hi:[1,0] neg_lo:[0,1] neg_hi:[0,1]
	v_pk_add_f32 v[6:7], v[6:7], v[8:9] op_sel:[0,1] op_sel_hi:[1,0]
	v_pk_add_f32 v[50:51], v[12:13], v[10:11] op_sel:[0,1] op_sel_hi:[1,0] neg_lo:[0,1] neg_hi:[0,1]
	v_pk_add_f32 v[46:47], v[6:7], v[10:11] op_sel:[0,1] op_sel_hi:[1,0]
	v_mov_b32_e32 v6, v50
	v_mov_b32_e32 v7, v47
	v_pk_fma_f32 v[26:27], v[16:17], s[4:5], v[6:7] op_sel_hi:[1,0,1]
	v_pk_mul_f32 v[6:7], v[138:139], s[2:3] op_sel_hi:[0,1]
	v_pk_fma_f32 v[54:55], v[122:123], s[10:11], v[6:7] neg_lo:[0,0,1] neg_hi:[0,0,1]
	v_pk_fma_f32 v[6:7], v[122:123], s[10:11], v[6:7] op_sel_hi:[0,1,1]
	v_mov_b32_e32 v55, v7
	v_pk_add_f32 v[134:135], v[56:57], v[104:105]
	v_pk_add_f32 v[6:7], v[26:27], v[54:55]
	ds_write2_b64 v245, v[134:135], v[6:7] offset1:30
	v_pk_add_f32 v[6:7], v[116:117], v[98:99]
	v_pk_add_f32 v[8:9], v[102:103], v[98:99] neg_lo:[0,1] neg_hi:[0,1]
	v_pk_fma_f32 v[18:19], v[6:7], 0.5, v[18:19] op_sel_hi:[1,0,1] neg_lo:[1,0,0] neg_hi:[1,0,0]
	v_pk_add_f32 v[6:7], v[112:113], v[116:117] neg_lo:[0,1] neg_hi:[0,1]
	v_pk_mul_f32 v[4:5], v[4:5], s[8:9] op_sel_hi:[1,0]
	v_pk_add_f32 v[6:7], v[6:7], v[8:9]
	v_pk_mul_f32 v[8:9], v[118:119], s[8:9] op_sel_hi:[0,1]
	v_pk_fma_f32 v[10:11], v[114:115], s[16:17], v[8:9] neg_lo:[0,0,1] neg_hi:[0,0,1]
	v_pk_fma_f32 v[8:9], v[114:115], s[16:17], v[8:9] op_sel_hi:[0,1,1]
	v_mov_b32_e32 v11, v9
	v_pk_mul_f32 v[2:3], v[2:3], s[2:3] op_sel_hi:[1,0]
	v_pk_add_f32 v[8:9], v[18:19], v[4:5] op_sel:[0,1] op_sel_hi:[1,0]
	v_pk_add_f32 v[4:5], v[18:19], v[4:5] op_sel:[0,1] op_sel_hi:[1,0] neg_lo:[0,1] neg_hi:[0,1]
	v_pk_mul_f32 v[14:15], v[110:111], s[8:9] op_sel_hi:[0,1]
	v_pk_add_f32 v[4:5], v[4:5], v[2:3] op_sel:[0,1] op_sel_hi:[1,0]
	v_pk_add_f32 v[2:3], v[8:9], v[2:3] op_sel:[0,1] op_sel_hi:[1,0] neg_lo:[0,1] neg_hi:[0,1]
	v_mov_b32_e32 v9, v5
	v_mov_b32_e32 v8, v2
	;; [unrolled: 1-line block ×3, first 2 shown]
	v_pk_fma_f32 v[8:9], v[6:7], s[4:5], v[8:9] op_sel_hi:[1,0,1]
	v_pk_fma_f32 v[14:15], v[108:109], s[6:7], v[14:15] op_sel_hi:[0,1,1] neg_lo:[0,0,1] neg_hi:[0,0,1]
	v_pk_fma_f32 v[2:3], v[6:7], s[4:5], v[4:5] op_sel_hi:[1,0,1]
	v_pk_add_f32 v[12:13], v[8:9], v[10:11]
	v_pk_add_f32 v[4:5], v[2:3], v[14:15]
	ds_write2_b64 v245, v[12:13], v[4:5] offset0:60 offset1:90
	v_pk_mul_f32 v[4:5], v[106:107], s[2:3] op_sel_hi:[0,1]
	v_mov_b32_e32 v47, v51
	v_pk_fma_f32 v[4:5], v[78:79], s[14:15], v[4:5] op_sel_hi:[0,1,1] neg_lo:[0,0,1] neg_hi:[0,0,1]
	v_pk_fma_f32 v[6:7], v[16:17], s[4:5], v[46:47] op_sel_hi:[1,0,1]
	v_pk_add_f32 v[16:17], v[56:57], v[104:105] neg_lo:[0,1] neg_hi:[0,1]
	v_pk_add_f32 v[12:13], v[6:7], v[4:5]
	v_pk_add_f32 v[2:3], v[2:3], v[14:15] neg_lo:[0,1] neg_hi:[0,1]
	v_pk_add_f32 v[4:5], v[6:7], v[4:5] neg_lo:[0,1] neg_hi:[0,1]
	v_accvgpr_read_b32 v6, a70
	v_pk_add_f32 v[158:159], v[162:163], v[160:161] neg_lo:[0,1] neg_hi:[0,1]
	ds_write2_b64 v245, v[12:13], v[16:17] offset0:120 offset1:150
	v_pk_add_f32 v[12:13], v[26:27], v[54:55] neg_lo:[0,1] neg_hi:[0,1]
	v_pk_add_f32 v[8:9], v[8:9], v[10:11] neg_lo:[0,1] neg_hi:[0,1]
	ds_write2_b64 v6, v[2:3], v[4:5] offset0:112 offset1:142
	v_pk_add_f32 v[4:5], v[156:157], v[148:149]
	v_mov_b32_e32 v133, v31
	ds_write2_b64 v245, v[12:13], v[8:9] offset0:180 offset1:210
	ds_write2_b64 v225, v[4:5], v[158:159] offset0:120 offset1:150
	v_pk_mul_f32 v[4:5], v[140:141], s[2:3] op_sel_hi:[0,1]
	v_pk_fma_f32 v[6:7], v[132:133], s[10:11], v[4:5] neg_lo:[0,0,1] neg_hi:[0,0,1]
	v_pk_fma_f32 v[4:5], v[132:133], s[10:11], v[4:5] op_sel_hi:[0,1,1]
	v_mov_b32_e32 v153, v155
	v_mov_b32_e32 v7, v5
	v_pk_fma_f32 v[4:5], v[130:131], s[4:5], v[152:153] op_sel_hi:[1,0,1]
	v_pk_add_f32 v[2:3], v[162:163], v[160:161]
	v_pk_add_f32 v[8:9], v[4:5], v[6:7] neg_lo:[0,1] neg_hi:[0,1]
	v_pk_add_f32 v[4:5], v[4:5], v[6:7]
	ds_write2_b64 v225, v[2:3], v[4:5] offset1:30
	v_pk_add_f32 v[4:5], v[150:151], v[44:45]
	v_pk_add_f32 v[6:7], v[48:49], v[44:45] neg_lo:[0,1] neg_hi:[0,1]
	v_pk_fma_f32 v[0:1], v[4:5], 0.5, v[0:1] op_sel_hi:[1,0,1] neg_lo:[1,0,0] neg_hi:[1,0,0]
	v_pk_add_f32 v[4:5], v[52:53], v[150:151] neg_lo:[0,1] neg_hi:[0,1]
	v_mov_b32_e32 v137, v35
	v_pk_add_f32 v[4:5], v[4:5], v[6:7]
	v_pk_fma_f32 v[6:7], v[126:127], s[8:9], v[0:1] op_sel:[1,0,0] op_sel_hi:[0,0,1] neg_lo:[1,0,0] neg_hi:[1,0,0]
	v_pk_fma_f32 v[0:1], v[126:127], s[8:9], v[0:1] op_sel:[1,0,0] op_sel_hi:[0,0,1]
	v_pk_fma_f32 v[0:1], v[24:25], s[2:3], v[0:1] op_sel:[1,0,0] op_sel_hi:[0,0,1] neg_lo:[1,0,0] neg_hi:[1,0,0]
	v_pk_fma_f32 v[6:7], v[24:25], s[2:3], v[6:7] op_sel:[1,0,0] op_sel_hi:[0,0,1]
	v_pk_mul_f32 v[2:3], v[144:145], s[8:9] op_sel_hi:[0,1]
	v_mov_b32_e32 v10, v6
	v_mov_b32_e32 v11, v1
	;; [unrolled: 1-line block ×3, first 2 shown]
	v_pk_fma_f32 v[2:3], v[136:137], s[6:7], v[2:3] op_sel_hi:[0,1,1] neg_lo:[0,0,1] neg_hi:[0,0,1]
	v_pk_fma_f32 v[10:11], v[4:5], s[4:5], v[10:11] op_sel_hi:[1,0,1]
	v_mov_b32_e32 v1, v7
	v_pk_add_f32 v[12:13], v[10:11], v[2:3] neg_lo:[0,1] neg_hi:[0,1]
	v_pk_add_f32 v[2:3], v[10:11], v[2:3]
	v_pk_mul_f32 v[10:11], v[128:129], s[8:9] op_sel_hi:[0,1]
	v_pk_fma_f32 v[14:15], v[58:59], s[16:17], v[10:11] neg_lo:[0,0,1] neg_hi:[0,0,1]
	v_pk_fma_f32 v[10:11], v[58:59], s[16:17], v[10:11] op_sel_hi:[0,1,1]
	v_mov_b32_e32 v15, v11
	v_pk_fma_f32 v[0:1], v[4:5], s[4:5], v[0:1] op_sel_hi:[1,0,1]
	v_pk_add_f32 v[166:167], v[156:157], v[148:149] neg_lo:[0,1] neg_hi:[0,1]
	v_pk_add_f32 v[4:5], v[0:1], v[14:15] neg_lo:[0,1] neg_hi:[0,1]
	v_pk_add_f32 v[0:1], v[0:1], v[14:15]
	ds_write2_b64 v225, v[0:1], v[2:3] offset0:60 offset1:90
	ds_write2_b64 v225, v[8:9], v[4:5] offset0:180 offset1:210
	v_accvgpr_read_b32 v0, a71
	ds_write2_b64 v0, v[12:13], v[166:167] offset0:112 offset1:142
	s_waitcnt lgkmcnt(0)
	s_barrier
	ds_read2_b64 v[16:19], v250 offset1:100
	ds_read2_b64 v[0:3], v43 offset0:72 offset1:172
	ds_read2_b64 v[88:91], v35 offset0:88 offset1:188
	;; [unrolled: 1-line block ×9, first 2 shown]
	s_waitcnt lgkmcnt(8)
	v_pk_mul_f32 v[4:5], v[72:73], v[2:3] op_sel:[1,0]
	v_mov_b32_e32 v169, v43
	v_pk_fma_f32 v[6:7], v[72:73], v[2:3], v[4:5] op_sel:[0,0,1] op_sel_hi:[0,1,0]
	v_pk_fma_f32 v[4:5], v[72:73], v[2:3], v[4:5] op_sel:[0,0,1] op_sel_hi:[0,1,0] neg_lo:[0,0,1] neg_hi:[0,0,1]
	v_mov_b32_e32 v2, v75
	s_waitcnt lgkmcnt(7)
	v_pk_mul_f32 v[2:3], v[2:3], v[88:89] op_sel_hi:[0,1]
	v_pk_fma_f32 v[92:93], v[74:75], v[88:89], v[2:3] op_sel:[0,0,1] op_sel_hi:[1,1,0]
	v_pk_fma_f32 v[2:3], v[74:75], v[88:89], v[2:3] op_sel:[0,0,1] op_sel_hi:[0,1,0] neg_lo:[0,0,1] neg_hi:[0,0,1]
	v_mov_b32_e32 v93, v3
	s_waitcnt lgkmcnt(6)
	v_pk_mul_f32 v[2:3], v[68:69], v[54:55] op_sel:[1,0]
	v_mov_b32_e32 v7, v5
	v_pk_fma_f32 v[8:9], v[68:69], v[54:55], v[2:3] op_sel:[0,0,1] op_sel_hi:[1,1,0]
	v_pk_fma_f32 v[10:11], v[68:69], v[54:55], v[2:3] op_sel:[0,0,1] op_sel_hi:[0,1,0] neg_lo:[0,0,1] neg_hi:[0,0,1]
	v_mov_b32_e32 v2, v71
	s_waitcnt lgkmcnt(5)
	v_pk_mul_f32 v[2:3], v[2:3], v[84:85] op_sel_hi:[0,1]
	v_pk_fma_f32 v[74:75], v[70:71], v[84:85], v[2:3] op_sel:[0,0,1] op_sel_hi:[1,1,0]
	v_pk_fma_f32 v[2:3], v[70:71], v[84:85], v[2:3] op_sel:[0,0,1] op_sel_hi:[0,1,0] neg_lo:[0,0,1] neg_hi:[0,0,1]
	v_mov_b32_e32 v75, v3
	;; [unrolled: 11-line block ×3, first 2 shown]
	s_waitcnt lgkmcnt(2)
	v_pk_mul_f32 v[2:3], v[60:61], v[46:47] op_sel:[1,0]
	v_mov_b32_e32 v64, v12
	v_pk_fma_f32 v[50:51], v[60:61], v[46:47], v[2:3] op_sel:[0,0,1] op_sel_hi:[1,1,0]
	v_pk_fma_f32 v[54:55], v[60:61], v[46:47], v[2:3] op_sel:[0,0,1] op_sel_hi:[0,1,0] neg_lo:[0,0,1] neg_hi:[0,0,1]
	v_accvgpr_read_b32 v2, a82
	s_waitcnt lgkmcnt(1)
	v_pk_mul_f32 v[2:3], v[2:3], v[76:77] op_sel_hi:[0,1]
	v_accvgpr_read_b32 v46, a80
	v_pk_fma_f32 v[80:81], v[62:63], v[76:77], v[2:3] op_sel:[0,0,1] op_sel_hi:[1,1,0]
	v_pk_fma_f32 v[2:3], v[62:63], v[76:77], v[2:3] op_sel:[0,0,1] op_sel_hi:[0,1,0] neg_lo:[0,0,1] neg_hi:[0,0,1]
	v_accvgpr_read_b32 v47, a81
	v_mov_b32_e32 v81, v3
	s_waitcnt lgkmcnt(0)
	v_pk_mul_f32 v[2:3], v[46:47], v[26:27] op_sel:[1,0]
	v_mov_b32_e32 v62, v8
	v_pk_fma_f32 v[56:57], v[46:47], v[26:27], v[2:3] op_sel:[0,0,1] op_sel_hi:[1,1,0]
	v_mov_b32_e32 v65, v50
	v_mov_b32_e32 v63, v56
	v_pk_add_f32 v[66:67], v[62:63], v[64:65] neg_lo:[0,1] neg_hi:[0,1]
	v_mov_b32_e32 v13, v15
	v_mov_b32_e32 v51, v55
	v_pk_fma_f32 v[26:27], v[46:47], v[26:27], v[2:3] op_sel:[0,0,1] op_sel_hi:[0,1,0] neg_lo:[0,0,1] neg_hi:[0,0,1]
	v_mov_b32_e32 v4, v67
	v_mov_b32_e32 v57, v27
	v_pk_add_f32 v[46:47], v[12:13], v[50:51]
	v_pk_add_f32 v[60:61], v[12:13], v[50:51] neg_lo:[0,1] neg_hi:[0,1]
	v_pk_add_f32 v[66:67], v[66:67], v[4:5]
	v_fma_f32 v10, -0.5, v46, v6
	v_pk_add_f32 v[58:59], v[8:9], v[56:57] neg_lo:[0,1] neg_hi:[0,1]
	v_mov_b32_e32 v67, v61
	v_fmamk_f32 v14, v59, 0xbf737871, v10
	v_pk_mul_f32 v[66:67], v[66:67], s[4:5]
	v_fmac_f32_e32 v10, 0x3f737871, v59
	v_sub_f32_e32 v4, v14, v67
	v_add_f32_e32 v98, v66, v4
	v_add_f32_e32 v4, v67, v10
	v_pk_add_f32 v[62:63], v[64:65], v[62:63] neg_lo:[0,1] neg_hi:[0,1]
	v_add_f32_e32 v46, v66, v4
	v_mov_b32_e32 v4, v63
	v_pk_add_f32 v[66:67], v[8:9], v[56:57]
	v_mov_b32_e32 v10, v6
	v_pk_add_f32 v[62:63], v[62:63], v[4:5]
	v_fmac_f32_e32 v10, -0.5, v66
	v_mov_b32_e32 v63, v59
	v_pk_add_f32 v[6:7], v[6:7], v[8:9]
	v_fmamk_f32 v14, v61, 0x3f737871, v10
	v_pk_mul_f32 v[62:63], v[62:63], s[4:5]
	v_pk_add_f32 v[6:7], v[6:7], v[12:13]
	v_sub_f32_e32 v4, v14, v63
	v_fmac_f32_e32 v10, 0xbf737871, v61
	v_pk_add_f32 v[6:7], v[6:7], v[50:51]
	v_mov_b32_e32 v26, v11
	v_mov_b32_e32 v54, v15
	v_add_f32_e32 v94, v62, v4
	v_add_f32_e32 v4, v63, v10
	v_pk_add_f32 v[50:51], v[6:7], v[56:57]
	v_pk_add_f32 v[6:7], v[26:27], v[54:55] neg_lo:[0,1] neg_hi:[0,1]
	v_add_f32_e32 v76, v62, v4
	v_mov_b32_e32 v4, v7
	v_pk_add_f32 v[6:7], v[6:7], v[4:5]
	v_fma_f32 v8, -0.5, v47, v5
	v_mov_b32_e32 v7, v60
	v_fmamk_f32 v9, v58, 0x3f737871, v8
	v_pk_mul_f32 v[6:7], v[6:7], s[4:5]
	v_fmac_f32_e32 v8, 0xbf737871, v58
	v_add_f32_e32 v4, v7, v9
	v_add_f32_e32 v102, v6, v4
	v_sub_f32_e32 v4, v8, v7
	v_add_f32_e32 v88, v6, v4
	v_pk_add_f32 v[6:7], v[54:55], v[26:27] neg_lo:[0,1] neg_hi:[0,1]
	v_fmac_f32_e32 v5, -0.5, v67
	v_mov_b32_e32 v4, v7
	v_pk_add_f32 v[6:7], v[6:7], v[4:5]
	v_fmamk_f32 v8, v60, 0xbf737871, v5
	v_mov_b32_e32 v7, v58
	v_pk_mul_f32 v[6:7], v[6:7], s[4:5]
	v_fmac_f32_e32 v5, 0x3f737871, v60
	v_add_f32_e32 v4, v7, v8
	v_add_f32_e32 v100, v6, v4
	v_sub_f32_e32 v4, v5, v7
	ds_read2_b64 v[70:73], v221 offset0:144 offset1:244
	ds_read2_b64 v[66:69], v125 offset0:104 offset1:204
	;; [unrolled: 1-line block ×5, first 2 shown]
	v_add_f32_e32 v96, v6, v4
	s_waitcnt lgkmcnt(4)
	v_pk_mul_f32 v[4:5], v[40:41], v[70:71] op_sel:[1,0]
	v_pk_add_f32 v[108:109], v[80:81], v[84:85] neg_lo:[0,1] neg_hi:[0,1]
	v_pk_fma_f32 v[6:7], v[40:41], v[70:71], v[4:5] op_sel:[0,0,1] op_sel_hi:[0,1,0]
	v_pk_fma_f32 v[4:5], v[40:41], v[70:71], v[4:5] op_sel:[0,0,1] op_sel_hi:[0,1,0] neg_lo:[0,0,1] neg_hi:[0,0,1]
	v_accvgpr_read_b32 v4, a72
	v_pk_mul_f32 v[8:9], v[4:5], v[90:91] op_sel_hi:[0,1]
	v_pk_fma_f32 v[40:41], v[42:43], v[90:91], v[8:9] op_sel:[0,0,1] op_sel_hi:[1,1,0]
	v_pk_fma_f32 v[8:9], v[42:43], v[90:91], v[8:9] op_sel:[0,0,1] op_sel_hi:[0,1,0] neg_lo:[0,0,1] neg_hi:[0,0,1]
	v_accvgpr_read_b32 v4, a84
	v_mov_b32_e32 v41, v9
	s_waitcnt lgkmcnt(3)
	v_pk_mul_f32 v[8:9], v[36:37], v[66:67] op_sel:[1,0]
	v_pk_mul_f32 v[12:13], v[4:5], v[86:87] op_sel_hi:[0,1]
	v_pk_fma_f32 v[10:11], v[36:37], v[66:67], v[8:9] op_sel:[0,0,1] op_sel_hi:[1,1,0]
	v_pk_fma_f32 v[8:9], v[36:37], v[66:67], v[8:9] op_sel:[0,0,1] op_sel_hi:[0,1,0] neg_lo:[0,0,1] neg_hi:[0,0,1]
	v_pk_fma_f32 v[36:37], v[38:39], v[86:87], v[12:13] op_sel:[0,0,1] op_sel_hi:[1,1,0]
	v_pk_fma_f32 v[12:13], v[38:39], v[86:87], v[12:13] op_sel:[0,0,1] op_sel_hi:[0,1,0] neg_lo:[0,0,1] neg_hi:[0,0,1]
	v_accvgpr_read_b32 v4, a86
	v_mov_b32_e32 v37, v13
	s_waitcnt lgkmcnt(2)
	v_pk_mul_f32 v[12:13], v[32:33], v[58:59] op_sel:[1,0]
	v_pk_mul_f32 v[38:39], v[4:5], v[82:83] op_sel_hi:[0,1]
	v_pk_fma_f32 v[14:15], v[32:33], v[58:59], v[12:13] op_sel:[0,0,1] op_sel_hi:[1,1,0]
	v_pk_fma_f32 v[12:13], v[32:33], v[58:59], v[12:13] op_sel:[0,0,1] op_sel_hi:[0,1,0] neg_lo:[0,0,1] neg_hi:[0,0,1]
	v_pk_fma_f32 v[32:33], v[34:35], v[82:83], v[38:39] op_sel:[0,0,1] op_sel_hi:[1,1,0]
	v_pk_fma_f32 v[34:35], v[34:35], v[82:83], v[38:39] op_sel:[0,0,1] op_sel_hi:[0,1,0] neg_lo:[0,0,1] neg_hi:[0,0,1]
	v_mov_b32_e32 v33, v35
	s_waitcnt lgkmcnt(1)
	v_pk_mul_f32 v[34:35], v[28:29], v[54:55] op_sel:[1,0]
	v_accvgpr_read_b32 v4, a92
	v_pk_fma_f32 v[38:39], v[28:29], v[54:55], v[34:35] op_sel:[0,0,1] op_sel_hi:[1,1,0]
	v_pk_fma_f32 v[66:67], v[28:29], v[54:55], v[34:35] op_sel:[0,0,1] op_sel_hi:[0,1,0] neg_lo:[0,0,1] neg_hi:[0,0,1]
	v_pk_mul_f32 v[34:35], v[4:5], v[78:79] op_sel_hi:[0,1]
	v_pk_fma_f32 v[28:29], v[30:31], v[78:79], v[34:35] op_sel:[0,0,1] op_sel_hi:[1,1,0]
	v_pk_fma_f32 v[30:31], v[30:31], v[78:79], v[34:35] op_sel:[0,0,1] op_sel_hi:[0,1,0] neg_lo:[0,0,1] neg_hi:[0,0,1]
	v_accvgpr_read_b32 v34, a88
	v_accvgpr_read_b32 v35, a89
	v_mov_b32_e32 v29, v31
	s_waitcnt lgkmcnt(0)
	v_pk_mul_f32 v[30:31], v[34:35], v[62:63] op_sel:[1,0]
	v_mov_b32_e32 v42, v10
	v_pk_fma_f32 v[54:55], v[34:35], v[62:63], v[30:31] op_sel:[0,0,1] op_sel_hi:[1,1,0]
	v_mov_b32_e32 v58, v14
	v_mov_b32_e32 v43, v54
	;; [unrolled: 1-line block ×3, first 2 shown]
	v_pk_fma_f32 v[70:71], v[34:35], v[62:63], v[30:31] op_sel:[0,0,1] op_sel_hi:[0,1,0] neg_lo:[0,0,1] neg_hi:[0,0,1]
	v_pk_add_f32 v[62:63], v[42:43], v[58:59] neg_lo:[0,1] neg_hi:[0,1]
	v_mov_b32_e32 v15, v13
	v_mov_b32_e32 v39, v67
	;; [unrolled: 1-line block ×5, first 2 shown]
	v_pk_add_f32 v[34:35], v[14:15], v[38:39]
	v_pk_add_f32 v[86:87], v[14:15], v[38:39] neg_lo:[0,1] neg_hi:[0,1]
	v_pk_add_f32 v[62:63], v[62:63], v[4:5]
	v_fma_f32 v8, -0.5, v34, v6
	v_pk_add_f32 v[82:83], v[10:11], v[54:55] neg_lo:[0,1] neg_hi:[0,1]
	v_mov_b32_e32 v63, v87
	v_fmamk_f32 v12, v83, 0xbf737871, v8
	v_pk_mul_f32 v[78:79], v[62:63], s[4:5]
	v_fmac_f32_e32 v8, 0x3f737871, v83
	v_sub_f32_e32 v4, v12, v79
	v_add_f32_e32 v62, v78, v4
	v_add_f32_e32 v4, v79, v8
	v_pk_add_f32 v[42:43], v[58:59], v[42:43] neg_lo:[0,1] neg_hi:[0,1]
	v_add_f32_e32 v34, v78, v4
	v_mov_b32_e32 v4, v43
	v_mov_b32_e32 v7, v5
	v_pk_add_f32 v[78:79], v[10:11], v[54:55]
	v_mov_b32_e32 v8, v6
	v_pk_add_f32 v[42:43], v[42:43], v[4:5]
	v_fmac_f32_e32 v8, -0.5, v78
	v_mov_b32_e32 v43, v83
	v_pk_add_f32 v[6:7], v[6:7], v[10:11]
	v_fmamk_f32 v12, v87, 0x3f737871, v8
	v_pk_mul_f32 v[42:43], v[42:43], s[4:5]
	v_pk_add_f32 v[6:7], v[6:7], v[14:15]
	v_sub_f32_e32 v4, v12, v43
	v_fmac_f32_e32 v8, 0xbf737871, v87
	v_pk_add_f32 v[6:7], v[6:7], v[38:39]
	v_mov_b32_e32 v70, v9
	v_mov_b32_e32 v66, v13
	v_add_f32_e32 v58, v42, v4
	v_add_f32_e32 v4, v43, v8
	v_pk_add_f32 v[38:39], v[6:7], v[54:55]
	v_pk_add_f32 v[6:7], v[70:71], v[66:67] neg_lo:[0,1] neg_hi:[0,1]
	v_add_f32_e32 v42, v42, v4
	v_mov_b32_e32 v4, v7
	v_pk_add_f32 v[6:7], v[6:7], v[4:5]
	v_fma_f32 v8, -0.5, v35, v5
	v_mov_b32_e32 v7, v86
	v_fmamk_f32 v10, v82, 0x3f737871, v8
	v_pk_mul_f32 v[6:7], v[6:7], s[4:5]
	v_fmac_f32_e32 v8, 0xbf737871, v82
	v_add_f32_e32 v4, v7, v10
	v_add_f32_e32 v78, v6, v4
	v_sub_f32_e32 v4, v8, v7
	v_add_f32_e32 v54, v6, v4
	v_pk_add_f32 v[6:7], v[66:67], v[70:71] neg_lo:[0,1] neg_hi:[0,1]
	v_fmac_f32_e32 v5, -0.5, v79
	v_mov_b32_e32 v4, v7
	v_pk_add_f32 v[6:7], v[6:7], v[4:5]
	v_fmamk_f32 v8, v86, 0xbf737871, v5
	v_mov_b32_e32 v7, v82
	v_pk_mul_f32 v[6:7], v[6:7], s[4:5]
	v_fmac_f32_e32 v5, 0x3f737871, v86
	v_add_f32_e32 v4, v7, v8
	v_add_f32_e32 v70, v6, v4
	v_sub_f32_e32 v4, v5, v7
	v_add_f32_e32 v66, v6, v4
	v_pk_mul_f32 v[4:5], v[20:21], v[72:73] op_sel:[1,0]
	v_pk_mul_f32 v[102:103], v[102:103], s[2:3] op_sel_hi:[0,1]
	v_pk_fma_f32 v[86:87], v[20:21], v[72:73], v[4:5] op_sel:[0,0,1] op_sel_hi:[0,1,0]
	v_pk_fma_f32 v[72:73], v[20:21], v[72:73], v[4:5] op_sel:[0,0,1] op_sel_hi:[0,1,0] neg_lo:[0,0,1] neg_hi:[0,0,1]
	v_accvgpr_read_b32 v4, a90
	v_pk_mul_f32 v[4:5], v[4:5], v[52:53] op_sel_hi:[0,1]
	v_pk_fma_f32 v[20:21], v[22:23], v[52:53], v[4:5] op_sel:[0,0,1] op_sel_hi:[1,1,0]
	v_pk_fma_f32 v[4:5], v[22:23], v[52:53], v[4:5] op_sel:[0,0,1] op_sel_hi:[0,1,0] neg_lo:[0,0,1] neg_hi:[0,0,1]
	v_mov_b32_e32 v21, v5
	v_pk_mul_f32 v[4:5], v[230:231], v[68:69] op_sel:[1,0]
	v_mov_b32_e32 v87, v73
	v_pk_fma_f32 v[52:53], v[230:231], v[68:69], v[4:5] op_sel:[0,0,1] op_sel_hi:[1,1,0]
	v_pk_fma_f32 v[22:23], v[230:231], v[68:69], v[4:5] op_sel:[0,0,1] op_sel_hi:[0,1,0] neg_lo:[0,0,1] neg_hi:[0,0,1]
	v_accvgpr_read_b32 v4, a96
	v_pk_mul_f32 v[4:5], v[4:5], v[48:49] op_sel_hi:[0,1]
	v_pk_fma_f32 v[12:13], v[232:233], v[48:49], v[4:5] op_sel:[0,0,1] op_sel_hi:[1,1,0]
	v_pk_fma_f32 v[4:5], v[232:233], v[48:49], v[4:5] op_sel:[0,0,1] op_sel_hi:[0,1,0] neg_lo:[0,0,1] neg_hi:[0,0,1]
	v_mov_b32_e32 v13, v5
	v_pk_mul_f32 v[4:5], v[234:235], v[60:61] op_sel:[1,0]
	v_mov_b32_e32 v53, v23
	;; [unrolled: 9-line block ×3, first 2 shown]
	v_pk_fma_f32 v[44:45], v[238:239], v[56:57], v[4:5] op_sel:[0,0,1] op_sel_hi:[1,1,0]
	v_pk_fma_f32 v[10:11], v[238:239], v[56:57], v[4:5] op_sel:[0,0,1] op_sel_hi:[0,1,0] neg_lo:[0,0,1] neg_hi:[0,0,1]
	v_accvgpr_read_b32 v4, a100
	v_pk_mul_f32 v[6:7], v[4:5], v[24:25] op_sel_hi:[0,1]
	v_pk_fma_f32 v[4:5], v[240:241], v[24:25], v[6:7] op_sel:[0,0,1] op_sel_hi:[1,1,0]
	v_pk_fma_f32 v[6:7], v[240:241], v[24:25], v[6:7] op_sel:[0,0,1] op_sel_hi:[0,1,0] neg_lo:[0,0,1] neg_hi:[0,0,1]
	v_accvgpr_read_b32 v24, a94
	v_accvgpr_read_b32 v25, a95
	v_mov_b32_e32 v5, v7
	v_pk_mul_f32 v[6:7], v[24:25], v[64:65] op_sel:[1,0]
	v_mov_b32_e32 v56, v52
	v_pk_fma_f32 v[90:91], v[24:25], v[64:65], v[6:7] op_sel:[0,0,1] op_sel_hi:[1,1,0]
	v_mov_b32_e32 v105, v44
	v_mov_b32_e32 v57, v90
	v_pk_add_f32 v[106:107], v[56:57], v[104:105] neg_lo:[0,1] neg_hi:[0,1]
	v_mov_b32_e32 v49, v15
	v_mov_b32_e32 v45, v11
	v_pk_fma_f32 v[68:69], v[24:25], v[64:65], v[6:7] op_sel:[0,0,1] op_sel_hi:[0,1,0] neg_lo:[0,0,1] neg_hi:[0,0,1]
	v_mov_b32_e32 v10, v107
	v_mov_b32_e32 v91, v69
	v_pk_add_f32 v[24:25], v[48:49], v[44:45]
	v_pk_add_f32 v[60:61], v[48:49], v[44:45] neg_lo:[0,1] neg_hi:[0,1]
	v_pk_add_f32 v[106:107], v[106:107], v[10:11]
	v_fma_f32 v14, -0.5, v24, v86
	v_pk_add_f32 v[64:65], v[52:53], v[90:91] neg_lo:[0,1] neg_hi:[0,1]
	v_mov_b32_e32 v107, v61
	v_fmamk_f32 v22, v65, 0xbf737871, v14
	v_pk_mul_f32 v[106:107], v[106:107], s[4:5]
	v_fmac_f32_e32 v14, 0x3f737871, v65
	v_sub_f32_e32 v10, v22, v107
	v_add_f32_e32 v24, v106, v10
	v_add_f32_e32 v10, v107, v14
	v_pk_add_f32 v[56:57], v[104:105], v[56:57] neg_lo:[0,1] neg_hi:[0,1]
	v_add_f32_e32 v14, v106, v10
	v_mov_b32_e32 v10, v57
	v_pk_add_f32 v[106:107], v[52:53], v[90:91]
	v_mov_b32_e32 v22, v86
	v_pk_add_f32 v[56:57], v[56:57], v[10:11]
	v_fmac_f32_e32 v22, -0.5, v106
	v_mov_b32_e32 v57, v65
	v_fmamk_f32 v35, v61, 0x3f737871, v22
	v_pk_mul_f32 v[104:105], v[56:57], s[4:5]
	v_fmac_f32_e32 v22, 0xbf737871, v61
	v_sub_f32_e32 v10, v35, v105
	v_add_f32_e32 v56, v104, v10
	v_add_f32_e32 v10, v105, v22
	v_pk_add_f32 v[52:53], v[86:87], v[52:53]
	v_add_f32_e32 v22, v104, v10
	v_pk_add_f32 v[48:49], v[52:53], v[48:49]
	v_mov_b32_e32 v68, v23
	v_mov_b32_e32 v10, v15
	v_pk_add_f32 v[44:45], v[48:49], v[44:45]
	v_pk_add_f32 v[48:49], v[68:69], v[10:11] neg_lo:[0,1] neg_hi:[0,1]
	v_fma_f32 v25, -0.5, v25, v73
	v_mov_b32_e32 v52, v49
	v_pk_add_f32 v[48:49], v[48:49], v[52:53]
	v_pk_add_f32 v[10:11], v[10:11], v[68:69] neg_lo:[0,1] neg_hi:[0,1]
	v_mov_b32_e32 v49, v60
	v_fmamk_f32 v35, v64, 0x3f737871, v25
	v_pk_mul_f32 v[48:49], v[48:49], s[4:5]
	v_mov_b32_e32 v68, v11
	v_add_f32_e32 v15, v49, v35
	v_fmac_f32_e32 v25, 0xbf737871, v64
	v_pk_add_f32 v[10:11], v[10:11], v[68:69]
	v_add_f32_e32 v52, v48, v15
	v_sub_f32_e32 v15, v25, v49
	v_fmac_f32_e32 v73, -0.5, v107
	v_mov_b32_e32 v11, v64
	v_add_f32_e32 v48, v48, v15
	v_fmamk_f32 v15, v60, 0xbf737871, v73
	v_pk_mul_f32 v[10:11], v[10:11], s[4:5]
	v_fmac_f32_e32 v73, 0x3f737871, v60
	v_add_f32_e32 v15, v11, v15
	v_sub_f32_e32 v11, v73, v11
	v_pk_add_f32 v[68:69], v[74:75], v[84:85]
	v_pk_add_f32 v[72:73], v[92:93], v[80:81] neg_lo:[0,1] neg_hi:[0,1]
	v_pk_add_f32 v[44:45], v[44:45], v[90:91]
	v_pk_fma_f32 v[68:69], v[68:69], 0.5, v[16:17] op_sel_hi:[1,0,1] neg_lo:[1,0,0] neg_hi:[1,0,0]
	v_pk_mul_f32 v[86:87], v[72:73], s[8:9] op_sel_hi:[1,0]
	v_pk_add_f32 v[90:91], v[74:75], v[84:85] neg_lo:[0,1] neg_hi:[0,1]
	v_pk_add_f32 v[106:107], v[92:93], v[74:75] neg_lo:[0,1] neg_hi:[0,1]
	v_pk_mul_f32 v[104:105], v[90:91], s[2:3] op_sel_hi:[1,0]
	v_pk_add_f32 v[106:107], v[106:107], v[108:109]
	v_pk_add_f32 v[108:109], v[68:69], v[86:87] op_sel:[0,1] op_sel_hi:[1,0] neg_lo:[0,1] neg_hi:[0,1]
	v_pk_add_f32 v[68:69], v[68:69], v[86:87] op_sel:[0,1] op_sel_hi:[1,0]
	v_pk_add_f32 v[86:87], v[108:109], v[104:105] op_sel:[0,1] op_sel_hi:[1,0] neg_lo:[0,1] neg_hi:[0,1]
	v_pk_add_f32 v[68:69], v[68:69], v[104:105] op_sel:[0,1] op_sel_hi:[1,0]
	v_pk_add_f32 v[2:3], v[16:17], v[92:93]
	v_mov_b32_e32 v104, v86
	v_mov_b32_e32 v105, v69
	v_pk_fma_f32 v[108:109], v[98:99], s[10:11], v[102:103] neg_lo:[0,0,1] neg_hi:[0,0,1]
	v_pk_fma_f32 v[98:99], v[98:99], s[10:11], v[102:103] op_sel_hi:[0,1,1]
	v_pk_add_f32 v[2:3], v[2:3], v[74:75]
	v_pk_fma_f32 v[104:105], v[106:107], s[4:5], v[104:105] op_sel_hi:[1,0,1]
	v_mov_b32_e32 v109, v99
	v_pk_add_f32 v[2:3], v[2:3], v[84:85]
	v_pk_add_f32 v[98:99], v[104:105], v[108:109]
	v_pk_add_f32 v[2:3], v[2:3], v[80:81]
	ds_write_b64 v250, v[98:99] offset:2400
	v_pk_add_f32 v[98:99], v[92:93], v[80:81]
	v_pk_add_f32 v[74:75], v[74:75], v[92:93] neg_lo:[0,1] neg_hi:[0,1]
	v_pk_add_f32 v[80:81], v[84:85], v[80:81] neg_lo:[0,1] neg_hi:[0,1]
	v_pk_fma_f32 v[16:17], v[98:99], 0.5, v[16:17] op_sel_hi:[1,0,1] neg_lo:[1,0,0] neg_hi:[1,0,0]
	v_pk_add_f32 v[74:75], v[74:75], v[80:81]
	v_pk_mul_f32 v[80:81], v[100:101], s[8:9] op_sel_hi:[0,1]
	v_pk_fma_f32 v[84:85], v[94:95], s[16:17], v[80:81] neg_lo:[0,0,1] neg_hi:[0,0,1]
	v_pk_fma_f32 v[80:81], v[94:95], s[16:17], v[80:81] op_sel_hi:[0,1,1]
	v_mov_b32_e32 v85, v81
	v_pk_mul_f32 v[80:81], v[90:91], s[8:9] op_sel_hi:[1,0]
	v_pk_mul_f32 v[72:73], v[72:73], s[2:3] op_sel_hi:[1,0]
	v_pk_add_f32 v[90:91], v[16:17], v[80:81] op_sel:[0,1] op_sel_hi:[1,0]
	v_pk_add_f32 v[16:17], v[16:17], v[80:81] op_sel:[0,1] op_sel_hi:[1,0] neg_lo:[0,1] neg_hi:[0,1]
	v_pk_add_f32 v[26:27], v[2:3], v[50:51]
	v_pk_add_f32 v[16:17], v[16:17], v[72:73] op_sel:[0,1] op_sel_hi:[1,0]
	v_pk_add_f32 v[72:73], v[90:91], v[72:73] op_sel:[0,1] op_sel_hi:[1,0] neg_lo:[0,1] neg_hi:[0,1]
	v_mov_b32_e32 v81, v17
	v_mov_b32_e32 v80, v72
	v_pk_fma_f32 v[80:81], v[74:75], s[4:5], v[80:81] op_sel_hi:[1,0,1]
	v_mov_b32_e32 v17, v73
	v_pk_add_f32 v[90:91], v[80:81], v[84:85]
	ds_write_b64 v250, v[90:91] offset:4800
	v_pk_mul_f32 v[90:91], v[96:97], s[8:9] op_sel_hi:[0,1]
	v_pk_fma_f32 v[76:77], v[76:77], s[6:7], v[90:91] op_sel_hi:[0,1,1] neg_lo:[0,0,1] neg_hi:[0,0,1]
	v_pk_fma_f32 v[16:17], v[74:75], s[4:5], v[16:17] op_sel_hi:[1,0,1]
	v_pk_add_f32 v[2:3], v[2:3], v[50:51] neg_lo:[0,1] neg_hi:[0,1]
	v_pk_add_f32 v[30:31], v[18:19], v[40:41]
	v_pk_add_f32 v[72:73], v[16:17], v[76:77]
	ds_write_b64 v250, v[2:3] offset:12000
	v_pk_add_f32 v[2:3], v[104:105], v[108:109] neg_lo:[0,1] neg_hi:[0,1]
	v_pk_add_f32 v[30:31], v[30:31], v[36:37]
	ds_write_b64 v250, v[72:73] offset:7200
	v_pk_mul_f32 v[72:73], v[88:89], s[2:3] op_sel_hi:[0,1]
	v_mov_b32_e32 v69, v87
	ds_write_b64 v250, v[2:3] offset:14400
	v_pk_add_f32 v[2:3], v[80:81], v[84:85] neg_lo:[0,1] neg_hi:[0,1]
	v_pk_add_f32 v[30:31], v[30:31], v[32:33]
	v_pk_fma_f32 v[46:47], v[46:47], s[14:15], v[72:73] op_sel_hi:[0,1,1] neg_lo:[0,0,1] neg_hi:[0,0,1]
	v_pk_fma_f32 v[68:69], v[106:107], s[4:5], v[68:69] op_sel_hi:[1,0,1]
	ds_write_b64 v250, v[2:3] offset:16800
	v_pk_add_f32 v[2:3], v[16:17], v[76:77] neg_lo:[0,1] neg_hi:[0,1]
	v_pk_add_f32 v[30:31], v[30:31], v[28:29]
	v_pk_add_f32 v[72:73], v[68:69], v[46:47]
	ds_write_b64 v250, v[2:3] offset:19200
	v_pk_add_f32 v[2:3], v[68:69], v[46:47] neg_lo:[0,1] neg_hi:[0,1]
	v_pk_add_f32 v[82:83], v[30:31], v[38:39]
	ds_write_b64 v250, v[72:73] offset:9600
	ds_write_b64 v250, v[2:3] offset:21600
	ds_write2_b64 v250, v[26:27], v[82:83] offset1:100
	v_pk_add_f32 v[2:3], v[36:37], v[32:33]
	v_pk_add_f32 v[16:17], v[40:41], v[28:29] neg_lo:[0,1] neg_hi:[0,1]
	v_pk_fma_f32 v[2:3], v[2:3], 0.5, v[18:19] op_sel_hi:[1,0,1] neg_lo:[1,0,0] neg_hi:[1,0,0]
	v_pk_mul_f32 v[26:27], v[16:17], s[8:9] op_sel_hi:[1,0]
	v_pk_add_f32 v[46:47], v[36:37], v[32:33] neg_lo:[0,1] neg_hi:[0,1]
	v_pk_add_f32 v[68:69], v[40:41], v[36:37] neg_lo:[0,1] neg_hi:[0,1]
	v_pk_add_f32 v[72:73], v[28:29], v[32:33] neg_lo:[0,1] neg_hi:[0,1]
	v_pk_mul_f32 v[50:51], v[46:47], s[2:3] op_sel_hi:[1,0]
	v_pk_add_f32 v[68:69], v[68:69], v[72:73]
	v_pk_add_f32 v[72:73], v[2:3], v[26:27] op_sel:[0,1] op_sel_hi:[1,0] neg_lo:[0,1] neg_hi:[0,1]
	v_pk_add_f32 v[2:3], v[2:3], v[26:27] op_sel:[0,1] op_sel_hi:[1,0]
	v_pk_add_f32 v[26:27], v[72:73], v[50:51] op_sel:[0,1] op_sel_hi:[1,0] neg_lo:[0,1] neg_hi:[0,1]
	v_pk_mul_f32 v[72:73], v[78:79], s[2:3] op_sel_hi:[0,1]
	v_pk_fma_f32 v[74:75], v[62:63], s[10:11], v[72:73] neg_lo:[0,0,1] neg_hi:[0,0,1]
	v_pk_fma_f32 v[62:63], v[62:63], s[10:11], v[72:73] op_sel_hi:[0,1,1]
	v_pk_add_f32 v[72:73], v[40:41], v[28:29]
	v_pk_add_f32 v[36:37], v[36:37], v[40:41] neg_lo:[0,1] neg_hi:[0,1]
	v_pk_add_f32 v[28:29], v[32:33], v[28:29] neg_lo:[0,1] neg_hi:[0,1]
	v_pk_mul_f32 v[32:33], v[70:71], s[8:9] op_sel_hi:[0,1]
	v_pk_add_f32 v[28:29], v[36:37], v[28:29]
	v_pk_fma_f32 v[36:37], v[58:59], s[16:17], v[32:33] neg_lo:[0,0,1] neg_hi:[0,0,1]
	v_pk_fma_f32 v[32:33], v[58:59], s[16:17], v[32:33] op_sel_hi:[0,1,1]
	v_pk_fma_f32 v[18:19], v[72:73], 0.5, v[18:19] op_sel_hi:[1,0,1] neg_lo:[1,0,0] neg_hi:[1,0,0]
	v_mov_b32_e32 v37, v33
	v_pk_mul_f32 v[32:33], v[46:47], s[8:9] op_sel_hi:[1,0]
	v_pk_mul_f32 v[16:17], v[16:17], s[2:3] op_sel_hi:[1,0]
	v_pk_add_f32 v[40:41], v[18:19], v[32:33] op_sel:[0,1] op_sel_hi:[1,0]
	v_pk_add_f32 v[18:19], v[18:19], v[32:33] op_sel:[0,1] op_sel_hi:[1,0] neg_lo:[0,1] neg_hi:[0,1]
	v_pk_add_f32 v[2:3], v[2:3], v[50:51] op_sel:[0,1] op_sel_hi:[1,0]
	v_pk_add_f32 v[18:19], v[18:19], v[16:17] op_sel:[0,1] op_sel_hi:[1,0]
	v_pk_add_f32 v[16:17], v[40:41], v[16:17] op_sel:[0,1] op_sel_hi:[1,0] neg_lo:[0,1] neg_hi:[0,1]
	v_mov_b32_e32 v33, v19
	v_mov_b32_e32 v32, v16
	;; [unrolled: 1-line block ×4, first 2 shown]
	v_pk_fma_f32 v[32:33], v[28:29], s[4:5], v[32:33] op_sel_hi:[1,0,1]
	v_pk_fma_f32 v[16:17], v[28:29], s[4:5], v[18:19] op_sel_hi:[1,0,1]
	v_pk_mul_f32 v[28:29], v[54:55], s[2:3] op_sel_hi:[0,1]
	v_mov_b32_e32 v3, v27
	v_mov_b32_e32 v50, v26
	v_pk_mul_f32 v[46:47], v[66:67], s[8:9] op_sel_hi:[0,1]
	v_pk_fma_f32 v[28:29], v[34:35], s[14:15], v[28:29] op_sel_hi:[0,1,1] neg_lo:[0,0,1] neg_hi:[0,0,1]
	v_pk_fma_f32 v[2:3], v[68:69], s[4:5], v[2:3] op_sel_hi:[1,0,1]
	v_pk_fma_f32 v[50:51], v[68:69], s[4:5], v[50:51] op_sel_hi:[1,0,1]
	v_mov_b32_e32 v75, v63
	v_pk_add_f32 v[40:41], v[32:33], v[36:37]
	v_pk_fma_f32 v[42:43], v[42:43], s[6:7], v[46:47] op_sel_hi:[0,1,1] neg_lo:[0,0,1] neg_hi:[0,0,1]
	v_pk_add_f32 v[26:27], v[2:3], v[28:29]
	v_pk_add_f32 v[32:33], v[32:33], v[36:37] neg_lo:[0,1] neg_hi:[0,1]
	v_pk_add_f32 v[2:3], v[2:3], v[28:29] neg_lo:[0,1] neg_hi:[0,1]
	v_pk_add_f32 v[28:29], v[12:13], v[8:9]
	v_pk_add_f32 v[36:37], v[20:21], v[4:5] neg_lo:[0,1] neg_hi:[0,1]
	v_pk_add_f32 v[62:63], v[50:51], v[74:75]
	v_pk_add_f32 v[18:19], v[16:17], v[42:43]
	v_pk_add_f32 v[30:31], v[30:31], v[38:39] neg_lo:[0,1] neg_hi:[0,1]
	v_pk_add_f32 v[34:35], v[50:51], v[74:75] neg_lo:[0,1] neg_hi:[0,1]
	;; [unrolled: 1-line block ×3, first 2 shown]
	v_pk_fma_f32 v[28:29], v[28:29], 0.5, v[0:1] op_sel_hi:[1,0,1] neg_lo:[1,0,0] neg_hi:[1,0,0]
	v_pk_mul_f32 v[38:39], v[36:37], s[8:9] op_sel_hi:[1,0]
	v_pk_add_f32 v[42:43], v[12:13], v[8:9] neg_lo:[0,1] neg_hi:[0,1]
	v_pk_add_f32 v[50:51], v[20:21], v[12:13] neg_lo:[0,1] neg_hi:[0,1]
	;; [unrolled: 1-line block ×3, first 2 shown]
	v_pk_mul_f32 v[46:47], v[42:43], s[2:3] op_sel_hi:[1,0]
	v_pk_add_f32 v[50:51], v[50:51], v[54:55]
	v_pk_add_f32 v[54:55], v[28:29], v[38:39] op_sel:[0,1] op_sel_hi:[1,0] neg_lo:[0,1] neg_hi:[0,1]
	v_pk_add_f32 v[28:29], v[28:29], v[38:39] op_sel:[0,1] op_sel_hi:[1,0]
	v_pk_add_f32 v[38:39], v[54:55], v[46:47] op_sel:[0,1] op_sel_hi:[1,0] neg_lo:[0,1] neg_hi:[0,1]
	v_pk_add_f32 v[28:29], v[28:29], v[46:47] op_sel:[0,1] op_sel_hi:[1,0]
	v_pk_mul_f32 v[52:53], v[52:53], s[2:3] op_sel_hi:[0,1]
	v_pk_add_f32 v[6:7], v[0:1], v[20:21]
	v_mov_b32_e32 v46, v38
	v_mov_b32_e32 v47, v29
	v_pk_fma_f32 v[54:55], v[24:25], s[10:11], v[52:53] neg_lo:[0,0,1] neg_hi:[0,0,1]
	v_pk_fma_f32 v[24:25], v[24:25], s[10:11], v[52:53] op_sel_hi:[0,1,1]
	v_pk_add_f32 v[6:7], v[6:7], v[12:13]
	v_pk_fma_f32 v[46:47], v[50:51], s[4:5], v[46:47] op_sel_hi:[1,0,1]
	v_mov_b32_e32 v55, v25
	v_pk_add_f32 v[6:7], v[6:7], v[8:9]
	v_add_f32_e32 v64, v10, v15
	v_pk_add_f32 v[24:25], v[46:47], v[54:55]
	v_pk_add_f32 v[6:7], v[6:7], v[4:5]
	ds_write2_b64 v221, v[62:63], v[24:25] offset0:144 offset1:244
	v_pk_add_f32 v[24:25], v[20:21], v[4:5]
	v_pk_add_f32 v[12:13], v[12:13], v[20:21] neg_lo:[0,1] neg_hi:[0,1]
	v_pk_add_f32 v[4:5], v[8:9], v[4:5] neg_lo:[0,1] neg_hi:[0,1]
	v_pk_mul_f32 v[8:9], v[64:65], s[8:9] op_sel_hi:[0,1]
	v_pk_add_f32 v[4:5], v[12:13], v[4:5]
	v_pk_fma_f32 v[12:13], v[56:57], s[16:17], v[8:9] neg_lo:[0,0,1] neg_hi:[0,0,1]
	v_pk_fma_f32 v[8:9], v[56:57], s[16:17], v[8:9] op_sel_hi:[0,1,1]
	v_pk_fma_f32 v[0:1], v[24:25], 0.5, v[0:1] op_sel_hi:[1,0,1] neg_lo:[1,0,0] neg_hi:[1,0,0]
	v_mov_b32_e32 v13, v9
	v_pk_mul_f32 v[8:9], v[42:43], s[8:9] op_sel_hi:[1,0]
	v_pk_mul_f32 v[20:21], v[36:37], s[2:3] op_sel_hi:[1,0]
	v_pk_add_f32 v[24:25], v[0:1], v[8:9] op_sel:[0,1] op_sel_hi:[1,0]
	v_pk_add_f32 v[0:1], v[0:1], v[8:9] op_sel:[0,1] op_sel_hi:[1,0] neg_lo:[0,1] neg_hi:[0,1]
	v_add_f32_e32 v10, v10, v11
	v_pk_add_f32 v[0:1], v[0:1], v[20:21] op_sel:[0,1] op_sel_hi:[1,0]
	v_pk_add_f32 v[8:9], v[24:25], v[20:21] op_sel:[0,1] op_sel_hi:[1,0] neg_lo:[0,1] neg_hi:[0,1]
	v_mov_b32_e32 v21, v1
	v_pk_mul_f32 v[10:11], v[10:11], s[8:9] op_sel_hi:[0,1]
	v_mov_b32_e32 v1, v9
	v_mov_b32_e32 v20, v8
	v_pk_fma_f32 v[10:11], v[22:23], s[6:7], v[10:11] op_sel_hi:[0,1,1] neg_lo:[0,0,1] neg_hi:[0,0,1]
	v_pk_fma_f32 v[0:1], v[4:5], s[4:5], v[0:1] op_sel_hi:[1,0,1]
	v_pk_fma_f32 v[20:21], v[4:5], s[4:5], v[20:21] op_sel_hi:[1,0,1]
	v_pk_add_f32 v[4:5], v[0:1], v[10:11]
	v_pk_add_f32 v[60:61], v[6:7], v[44:45]
	ds_write2_b64 v125, v[18:19], v[4:5] offset0:104 offset1:204
	v_pk_mul_f32 v[4:5], v[48:49], s[2:3] op_sel_hi:[0,1]
	v_mov_b32_e32 v29, v39
	v_pk_add_f32 v[6:7], v[6:7], v[44:45] neg_lo:[0,1] neg_hi:[0,1]
	v_pk_fma_f32 v[4:5], v[14:15], s[14:15], v[4:5] op_sel_hi:[0,1,1] neg_lo:[0,0,1] neg_hi:[0,0,1]
	v_pk_fma_f32 v[8:9], v[50:51], s[4:5], v[28:29] op_sel_hi:[1,0,1]
	ds_write2_b64 v233, v[30:31], v[6:7] offset0:64 offset1:164
	v_pk_add_f32 v[6:7], v[46:47], v[54:55] neg_lo:[0,1] neg_hi:[0,1]
	v_pk_add_f32 v[0:1], v[0:1], v[10:11] neg_lo:[0,1] neg_hi:[0,1]
	v_pk_add_f32 v[24:25], v[20:21], v[12:13]
	v_pk_add_f32 v[14:15], v[8:9], v[4:5]
	ds_write2_b64 v246, v[34:35], v[6:7] offset0:108 offset1:208
	v_pk_add_f32 v[6:7], v[20:21], v[12:13] neg_lo:[0,1] neg_hi:[0,1]
	ds_write2_b64 v248, v[16:17], v[0:1] offset0:68 offset1:168
	v_pk_add_f32 v[0:1], v[8:9], v[4:5] neg_lo:[0,1] neg_hi:[0,1]
	ds_write_b64 v250, v[60:61] offset:1600
	ds_write2_b64 v229, v[40:41], v[24:25] offset0:60 offset1:160
	ds_write2_b64 v241, v[26:27], v[14:15] offset0:20 offset1:120
	;; [unrolled: 1-line block ×4, first 2 shown]
	s_waitcnt lgkmcnt(0)
	s_barrier
	ds_read2_b64 v[10:13], v250 offset1:100
	v_accvgpr_read_b32 v2, a34
	v_accvgpr_read_b32 v3, a35
	s_mov_b32 s2, 0xc3ece2a5
	s_mov_b32 s3, 0x3f35d867
	s_waitcnt lgkmcnt(0)
	v_mul_f32_e32 v0, v3, v11
	v_fmac_f32_e32 v0, v2, v10
	v_cvt_f64_f32_e32 v[0:1], v0
	v_mul_f64 v[0:1], v[0:1], s[2:3]
	v_cvt_f32_f64_e32 v0, v[0:1]
	v_mul_f32_e32 v1, v3, v10
	v_fma_f32 v1, v2, v11, -v1
	v_cvt_f64_f32_e32 v[2:3], v1
	v_mul_f64 v[2:3], v[2:3], s[2:3]
	v_cvt_f32_f64_e32 v1, v[2:3]
	v_mad_u64_u32 v[2:3], s[4:5], s0, v228, 0
	v_mov_b32_e32 v4, v3
	v_mad_u64_u32 v[4:5], s[4:5], s1, v228, v[4:5]
	v_mov_b32_e32 v3, v4
	v_accvgpr_read_b32 v4, a4
	v_accvgpr_read_b32 v6, a8
	;; [unrolled: 1-line block ×4, first 2 shown]
	v_lshl_add_u64 v[4:5], v[6:7], 3, v[4:5]
	v_lshl_add_u64 v[4:5], v[2:3], 3, v[4:5]
	global_store_dwordx2 v[4:5], v[0:1], off
	ds_read2_b64 v[0:3], v169 offset0:72 offset1:172
	v_accvgpr_read_b32 v8, a24
	v_accvgpr_read_b32 v9, a25
	ds_read2_b64 v[14:17], v137 offset0:88 offset1:188
	v_accvgpr_read_b32 v10, a16
	s_waitcnt lgkmcnt(1)
	v_mul_f32_e32 v6, v9, v3
	v_fmac_f32_e32 v6, v8, v2
	v_mul_f32_e32 v2, v9, v2
	v_fma_f32 v2, v8, v3, -v2
	v_cvt_f64_f32_e32 v[6:7], v6
	v_cvt_f64_f32_e32 v[2:3], v2
	v_mul_f64 v[6:7], v[6:7], s[2:3]
	v_mul_f64 v[2:3], v[2:3], s[2:3]
	v_cvt_f32_f64_e32 v6, v[6:7]
	v_cvt_f32_f64_e32 v7, v[2:3]
	v_mad_u64_u32 v[2:3], s[4:5], s0, v124, v[4:5]
	s_mul_i32 s4, s1, 0x960
	s_nop 0
	v_add_u32_e32 v3, s4, v3
	global_store_dwordx2 v[2:3], v[6:7], off
	v_accvgpr_read_b32 v6, a30
	v_accvgpr_read_b32 v7, a31
	s_waitcnt lgkmcnt(0)
	v_mul_f32_e32 v4, v7, v15
	v_fmac_f32_e32 v4, v6, v14
	v_cvt_f64_f32_e32 v[4:5], v4
	v_mul_f64 v[4:5], v[4:5], s[2:3]
	v_cvt_f32_f64_e32 v4, v[4:5]
	v_mul_f32_e32 v5, v7, v14
	v_fma_f32 v5, v6, v15, -v5
	v_cvt_f64_f32_e32 v[6:7], v5
	v_mul_f64 v[6:7], v[6:7], s[2:3]
	v_cvt_f32_f64_e32 v5, v[6:7]
	v_mad_u64_u32 v[6:7], s[6:7], s0, v124, v[2:3]
	v_add_u32_e32 v7, s4, v7
	global_store_dwordx2 v[6:7], v[4:5], off
	ds_read2_b64 v[2:5], v115 offset0:32 offset1:132
	v_accvgpr_read_b32 v11, a17
	ds_read2_b64 v[18:21], v133 offset0:48 offset1:148
	v_accvgpr_read_b32 v14, a18
	v_accvgpr_read_b32 v15, a19
	s_waitcnt lgkmcnt(1)
	v_mul_f32_e32 v8, v11, v5
	v_fmac_f32_e32 v8, v10, v4
	v_mul_f32_e32 v4, v11, v4
	v_fma_f32 v4, v10, v5, -v4
	v_cvt_f64_f32_e32 v[8:9], v8
	v_cvt_f64_f32_e32 v[4:5], v4
	v_mul_f64 v[8:9], v[8:9], s[2:3]
	v_mul_f64 v[4:5], v[4:5], s[2:3]
	v_cvt_f32_f64_e32 v8, v[8:9]
	v_cvt_f32_f64_e32 v9, v[4:5]
	v_mad_u64_u32 v[4:5], s[6:7], s0, v124, v[6:7]
	v_add_u32_e32 v5, s4, v5
	global_store_dwordx2 v[4:5], v[8:9], off
	v_accvgpr_read_b32 v8, a32
	v_accvgpr_read_b32 v9, a33
	s_waitcnt lgkmcnt(0)
	v_mul_f32_e32 v6, v9, v19
	v_fmac_f32_e32 v6, v8, v18
	v_cvt_f64_f32_e32 v[6:7], v6
	v_mul_f64 v[6:7], v[6:7], s[2:3]
	v_cvt_f32_f64_e32 v6, v[6:7]
	v_mul_f32_e32 v7, v9, v18
	v_fma_f32 v7, v8, v19, -v7
	v_cvt_f64_f32_e32 v[8:9], v7
	v_mul_f64 v[8:9], v[8:9], s[2:3]
	v_cvt_f32_f64_e32 v7, v[8:9]
	v_mad_u64_u32 v[8:9], s[6:7], s0, v124, v[4:5]
	v_add_u32_e32 v9, s4, v9
	global_store_dwordx2 v[8:9], v[6:7], off
	ds_read2_b64 v[4:7], v241 offset0:120 offset1:220
	ds_read2_b64 v[22:25], v246 offset0:8 offset1:108
	v_accvgpr_read_b32 v18, a36
	v_accvgpr_read_b32 v19, a37
	ds_read2_b64 v[26:29], v129 offset0:96 offset1:196
	s_waitcnt lgkmcnt(2)
	v_mul_f32_e32 v10, v15, v7
	v_fmac_f32_e32 v10, v14, v6
	v_mul_f32_e32 v6, v15, v6
	v_fma_f32 v6, v14, v7, -v6
	v_cvt_f64_f32_e32 v[10:11], v10
	v_cvt_f64_f32_e32 v[6:7], v6
	v_mul_f64 v[10:11], v[10:11], s[2:3]
	v_mul_f64 v[6:7], v[6:7], s[2:3]
	v_cvt_f32_f64_e32 v10, v[10:11]
	v_cvt_f32_f64_e32 v11, v[6:7]
	v_mad_u64_u32 v[6:7], s[6:7], s0, v124, v[8:9]
	v_add_u32_e32 v7, s4, v7
	global_store_dwordx2 v[6:7], v[10:11], off
	v_accvgpr_read_b32 v10, a28
	v_accvgpr_read_b32 v11, a29
	s_waitcnt lgkmcnt(1)
	v_mul_f32_e32 v8, v11, v23
	v_fmac_f32_e32 v8, v10, v22
	v_cvt_f64_f32_e32 v[8:9], v8
	v_mul_f64 v[8:9], v[8:9], s[2:3]
	v_cvt_f32_f64_e32 v8, v[8:9]
	v_mul_f32_e32 v9, v11, v22
	v_fma_f32 v9, v10, v23, -v9
	v_cvt_f64_f32_e32 v[10:11], v9
	v_mul_f64 v[10:11], v[10:11], s[2:3]
	v_cvt_f32_f64_e32 v9, v[10:11]
	v_mad_u64_u32 v[10:11], s[6:7], s0, v124, v[6:7]
	v_add_u32_e32 v11, s4, v11
	global_store_dwordx2 v[10:11], v[8:9], off
	ds_read2_b64 v[6:9], v168 offset0:80 offset1:180
	v_accvgpr_read_b32 v23, a15
	v_accvgpr_read_b32 v22, a14
	v_mov_b32_e32 v30, 0xffffaec0
	s_mulk_i32 s1, 0xaec0
	s_waitcnt lgkmcnt(0)
	v_mul_f32_e32 v14, v19, v9
	v_fmac_f32_e32 v14, v18, v8
	v_mul_f32_e32 v8, v19, v8
	v_fma_f32 v8, v18, v9, -v8
	v_cvt_f64_f32_e32 v[14:15], v14
	v_cvt_f64_f32_e32 v[8:9], v8
	v_mul_f64 v[14:15], v[14:15], s[2:3]
	v_mul_f64 v[8:9], v[8:9], s[2:3]
	v_cvt_f32_f64_e32 v14, v[14:15]
	v_cvt_f32_f64_e32 v15, v[8:9]
	v_mad_u64_u32 v[8:9], s[6:7], s0, v124, v[10:11]
	v_add_u32_e32 v9, s4, v9
	global_store_dwordx2 v[8:9], v[14:15], off
	v_accvgpr_read_b32 v14, a22
	v_accvgpr_read_b32 v15, a23
	v_mul_f32_e32 v10, v15, v27
	v_fmac_f32_e32 v10, v14, v26
	v_cvt_f64_f32_e32 v[10:11], v10
	v_mul_f64 v[10:11], v[10:11], s[2:3]
	v_cvt_f32_f64_e32 v10, v[10:11]
	v_mul_f32_e32 v11, v15, v26
	v_fma_f32 v11, v14, v27, -v11
	v_cvt_f64_f32_e32 v[14:15], v11
	v_mul_f64 v[14:15], v[14:15], s[2:3]
	v_cvt_f32_f64_e32 v11, v[14:15]
	v_mad_u64_u32 v[14:15], s[6:7], s0, v124, v[8:9]
	v_add_u32_e32 v15, s4, v15
	global_store_dwordx2 v[14:15], v[10:11], off
	ds_read2_b64 v[8:11], v249 offset0:40 offset1:140
	s_sub_i32 s1, s1, s0
	s_waitcnt lgkmcnt(0)
	v_mul_f32_e32 v18, v23, v11
	v_fmac_f32_e32 v18, v22, v10
	v_mul_f32_e32 v10, v23, v10
	v_fma_f32 v10, v22, v11, -v10
	v_cvt_f64_f32_e32 v[18:19], v18
	v_cvt_f64_f32_e32 v[10:11], v10
	v_mul_f64 v[18:19], v[18:19], s[2:3]
	v_mul_f64 v[10:11], v[10:11], s[2:3]
	v_cvt_f32_f64_e32 v18, v[18:19]
	v_cvt_f32_f64_e32 v19, v[10:11]
	v_mad_u64_u32 v[10:11], s[6:7], s0, v124, v[14:15]
	v_add_u32_e32 v11, s4, v11
	global_store_dwordx2 v[10:11], v[18:19], off
	v_accvgpr_read_b32 v18, a42
	v_accvgpr_read_b32 v19, a43
	v_mul_f32_e32 v14, v19, v13
	v_fmac_f32_e32 v14, v18, v12
	v_mul_f32_e32 v12, v19, v12
	v_fma_f32 v12, v18, v13, -v12
	v_cvt_f64_f32_e32 v[14:15], v14
	v_cvt_f64_f32_e32 v[12:13], v12
	v_mul_f64 v[14:15], v[14:15], s[2:3]
	v_mul_f64 v[12:13], v[12:13], s[2:3]
	v_cvt_f32_f64_e32 v14, v[14:15]
	v_cvt_f32_f64_e32 v15, v[12:13]
	v_mad_u64_u32 v[18:19], s[6:7], s0, v30, v[10:11]
	ds_read2_b64 v[10:13], v221 offset0:144 offset1:244
	v_accvgpr_read_b32 v22, a40
	v_add_u32_e32 v19, s1, v19
	v_accvgpr_read_b32 v23, a41
	global_store_dwordx2 v[18:19], v[14:15], off
	s_waitcnt lgkmcnt(0)
	v_mul_f32_e32 v14, v23, v11
	v_fmac_f32_e32 v14, v22, v10
	v_mul_f32_e32 v10, v23, v10
	v_fma_f32 v10, v22, v11, -v10
	v_cvt_f64_f32_e32 v[14:15], v14
	v_cvt_f64_f32_e32 v[10:11], v10
	v_mul_f64 v[14:15], v[14:15], s[2:3]
	v_mul_f64 v[10:11], v[10:11], s[2:3]
	v_cvt_f32_f64_e32 v14, v[14:15]
	v_cvt_f32_f64_e32 v15, v[10:11]
	v_mad_u64_u32 v[10:11], s[6:7], s0, v124, v[18:19]
	v_accvgpr_read_b32 v18, a38
	v_add_u32_e32 v11, s4, v11
	v_accvgpr_read_b32 v19, a39
	global_store_dwordx2 v[10:11], v[14:15], off
	v_mul_f32_e32 v14, v19, v17
	v_fmac_f32_e32 v14, v18, v16
	v_cvt_f64_f32_e32 v[14:15], v14
	v_mul_f64 v[14:15], v[14:15], s[2:3]
	v_cvt_f32_f64_e32 v14, v[14:15]
	v_mul_f32_e32 v15, v19, v16
	v_fma_f32 v15, v18, v17, -v15
	v_cvt_f64_f32_e32 v[16:17], v15
	v_mul_f64 v[16:17], v[16:17], s[2:3]
	v_mad_u64_u32 v[10:11], s[6:7], s0, v124, v[10:11]
	v_cvt_f32_f64_e32 v15, v[16:17]
	v_add_u32_e32 v11, s4, v11
	global_store_dwordx2 v[10:11], v[14:15], off
	ds_read2_b64 v[14:17], v125 offset0:104 offset1:204
	v_accvgpr_read_b32 v22, a26
	v_accvgpr_read_b32 v23, a27
	v_mad_u64_u32 v[10:11], s[6:7], s0, v124, v[10:11]
	s_waitcnt lgkmcnt(0)
	v_mul_f32_e32 v18, v23, v15
	v_fmac_f32_e32 v18, v22, v14
	v_mul_f32_e32 v14, v23, v14
	v_fma_f32 v14, v22, v15, -v14
	v_cvt_f64_f32_e32 v[18:19], v18
	v_cvt_f64_f32_e32 v[14:15], v14
	v_mul_f64 v[18:19], v[18:19], s[2:3]
	v_mul_f64 v[14:15], v[14:15], s[2:3]
	v_cvt_f32_f64_e32 v18, v[18:19]
	v_cvt_f32_f64_e32 v19, v[14:15]
	v_add_u32_e32 v11, s4, v11
	global_store_dwordx2 v[10:11], v[18:19], off
	v_accvgpr_read_b32 v18, a20
	v_accvgpr_read_b32 v19, a21
	v_mul_f32_e32 v14, v19, v21
	v_fmac_f32_e32 v14, v18, v20
	v_cvt_f64_f32_e32 v[14:15], v14
	v_mul_f64 v[14:15], v[14:15], s[2:3]
	v_cvt_f32_f64_e32 v14, v[14:15]
	v_mul_f32_e32 v15, v19, v20
	v_fma_f32 v15, v18, v21, -v15
	v_cvt_f64_f32_e32 v[18:19], v15
	v_mul_f64 v[18:19], v[18:19], s[2:3]
	v_cvt_f32_f64_e32 v15, v[18:19]
	ds_read2_b64 v[18:21], v233 offset0:64 offset1:164
	v_mad_u64_u32 v[10:11], s[6:7], s0, v124, v[10:11]
	v_add_u32_e32 v11, s4, v11
	v_accvgpr_read_b32 v23, a13
	global_store_dwordx2 v[10:11], v[14:15], off
	v_accvgpr_read_b32 v22, a12
	s_waitcnt lgkmcnt(0)
	v_mul_f32_e32 v14, v23, v19
	v_fmac_f32_e32 v14, v22, v18
	v_cvt_f64_f32_e32 v[14:15], v14
	v_mul_f64 v[14:15], v[14:15], s[2:3]
	v_cvt_f32_f64_e32 v14, v[14:15]
	v_mul_f32_e32 v15, v23, v18
	v_fma_f32 v15, v22, v19, -v15
	v_cvt_f64_f32_e32 v[18:19], v15
	v_mul_f64 v[18:19], v[18:19], s[2:3]
	v_mad_u64_u32 v[10:11], s[6:7], s0, v124, v[10:11]
	v_cvt_f32_f64_e32 v15, v[18:19]
	v_add_u32_e32 v11, s4, v11
	v_accvgpr_read_b32 v19, a11
	global_store_dwordx2 v[10:11], v[14:15], off
	v_accvgpr_read_b32 v18, a10
	v_mul_f32_e32 v14, v19, v25
	v_fmac_f32_e32 v14, v18, v24
	v_cvt_f64_f32_e32 v[14:15], v14
	v_mul_f64 v[14:15], v[14:15], s[2:3]
	v_cvt_f32_f64_e32 v14, v[14:15]
	v_mul_f32_e32 v15, v19, v24
	v_fma_f32 v15, v18, v25, -v15
	ds_read2_b64 v[22:25], v237 offset0:152 offset1:252
	v_cvt_f64_f32_e32 v[18:19], v15
	v_mul_f64 v[18:19], v[18:19], s[2:3]
	v_mad_u64_u32 v[10:11], s[6:7], s0, v124, v[10:11]
	v_cvt_f32_f64_e32 v15, v[18:19]
	v_add_u32_e32 v11, s4, v11
	v_accvgpr_read_b32 v19, a7
	global_store_dwordx2 v[10:11], v[14:15], off
	v_accvgpr_read_b32 v18, a6
	s_waitcnt lgkmcnt(0)
	v_mul_f32_e32 v14, v19, v23
	v_fmac_f32_e32 v14, v18, v22
	v_cvt_f64_f32_e32 v[14:15], v14
	v_mul_f64 v[14:15], v[14:15], s[2:3]
	v_cvt_f32_f64_e32 v14, v[14:15]
	v_mul_f32_e32 v15, v19, v22
	v_fma_f32 v15, v18, v23, -v15
	v_cvt_f64_f32_e32 v[18:19], v15
	v_mul_f64 v[18:19], v[18:19], s[2:3]
	v_mad_u64_u32 v[10:11], s[6:7], s0, v124, v[10:11]
	v_cvt_f32_f64_e32 v15, v[18:19]
	v_add_u32_e32 v11, s4, v11
	v_accvgpr_read_b32 v19, a3
	global_store_dwordx2 v[10:11], v[14:15], off
	v_accvgpr_read_b32 v18, a2
	v_mul_f32_e32 v14, v19, v29
	v_fmac_f32_e32 v14, v18, v28
	v_cvt_f64_f32_e32 v[14:15], v14
	v_mul_f64 v[14:15], v[14:15], s[2:3]
	v_cvt_f32_f64_e32 v14, v[14:15]
	v_mul_f32_e32 v15, v19, v28
	v_fma_f32 v15, v18, v29, -v15
	ds_read2_b64 v[26:29], v247 offset0:112 offset1:212
	v_cvt_f64_f32_e32 v[18:19], v15
	v_mul_f64 v[18:19], v[18:19], s[2:3]
	v_mad_u64_u32 v[10:11], s[6:7], s0, v124, v[10:11]
	v_cvt_f32_f64_e32 v15, v[18:19]
	v_add_u32_e32 v11, s4, v11
	v_accvgpr_read_b32 v19, a1
	global_store_dwordx2 v[10:11], v[14:15], off
	v_accvgpr_read_b32 v18, a0
	s_waitcnt lgkmcnt(0)
	v_mul_f32_e32 v14, v19, v27
	v_fmac_f32_e32 v14, v18, v26
	v_cvt_f64_f32_e32 v[14:15], v14
	v_mul_f64 v[14:15], v[14:15], s[2:3]
	v_cvt_f32_f64_e32 v14, v[14:15]
	v_mul_f32_e32 v15, v19, v26
	v_fma_f32 v15, v18, v27, -v15
	v_cvt_f64_f32_e32 v[18:19], v15
	v_mul_f64 v[18:19], v[18:19], s[2:3]
	v_cvt_f32_f64_e32 v15, v[18:19]
	v_mad_u64_u32 v[10:11], s[6:7], s0, v124, v[10:11]
	v_accvgpr_read_b32 v18, a46
	v_add_u32_e32 v11, s4, v11
	v_accvgpr_read_b32 v19, a47
	global_store_dwordx2 v[10:11], v[14:15], off
	v_mul_f32_e32 v14, v19, v1
	v_fmac_f32_e32 v14, v18, v0
	v_mul_f32_e32 v0, v19, v0
	v_fma_f32 v0, v18, v1, -v0
	v_cvt_f64_f32_e32 v[14:15], v14
	v_cvt_f64_f32_e32 v[0:1], v0
	v_mul_f64 v[14:15], v[14:15], s[2:3]
	v_mul_f64 v[0:1], v[0:1], s[2:3]
	v_cvt_f32_f64_e32 v14, v[14:15]
	v_cvt_f32_f64_e32 v15, v[0:1]
	v_mad_u64_u32 v[0:1], s[6:7], s0, v30, v[10:11]
	v_add_u32_e32 v1, s1, v1
	global_store_dwordx2 v[0:1], v[14:15], off
	v_accvgpr_read_b32 v14, a44
	v_accvgpr_read_b32 v15, a45
	v_mul_f32_e32 v10, v15, v13
	v_fmac_f32_e32 v10, v14, v12
	v_cvt_f64_f32_e32 v[10:11], v10
	v_mul_f64 v[10:11], v[10:11], s[2:3]
	v_cvt_f32_f64_e32 v10, v[10:11]
	v_mul_f32_e32 v11, v15, v12
	v_fma_f32 v11, v14, v13, -v11
	v_cvt_f64_f32_e32 v[12:13], v11
	v_mul_f64 v[12:13], v[12:13], s[2:3]
	v_cvt_f32_f64_e32 v11, v[12:13]
	v_mad_u64_u32 v[0:1], s[6:7], s0, v124, v[0:1]
	v_accvgpr_read_b32 v12, a48
	v_add_u32_e32 v1, s4, v1
	v_accvgpr_read_b32 v13, a49
	global_store_dwordx2 v[0:1], v[10:11], off
	v_mul_f32_e32 v10, v13, v3
	v_fmac_f32_e32 v10, v12, v2
	v_mul_f32_e32 v2, v13, v2
	v_fma_f32 v2, v12, v3, -v2
	v_cvt_f64_f32_e32 v[10:11], v10
	v_cvt_f64_f32_e32 v[2:3], v2
	v_mul_f64 v[10:11], v[10:11], s[2:3]
	v_mul_f64 v[2:3], v[2:3], s[2:3]
	v_mad_u64_u32 v[0:1], s[6:7], s0, v124, v[0:1]
	v_cvt_f32_f64_e32 v10, v[10:11]
	v_cvt_f32_f64_e32 v11, v[2:3]
	v_add_u32_e32 v1, s4, v1
	global_store_dwordx2 v[0:1], v[10:11], off
	v_accvgpr_read_b32 v10, a52
	v_accvgpr_read_b32 v11, a53
	v_mul_f32_e32 v2, v11, v17
	v_fmac_f32_e32 v2, v10, v16
	v_cvt_f64_f32_e32 v[2:3], v2
	v_mul_f64 v[2:3], v[2:3], s[2:3]
	v_cvt_f32_f64_e32 v2, v[2:3]
	v_mul_f32_e32 v3, v11, v16
	v_fma_f32 v3, v10, v17, -v3
	v_cvt_f64_f32_e32 v[10:11], v3
	v_mul_f64 v[10:11], v[10:11], s[2:3]
	v_cvt_f32_f64_e32 v3, v[10:11]
	v_mad_u64_u32 v[0:1], s[6:7], s0, v124, v[0:1]
	v_accvgpr_read_b32 v10, a50
	v_add_u32_e32 v1, s4, v1
	v_accvgpr_read_b32 v11, a51
	global_store_dwordx2 v[0:1], v[2:3], off
	v_mul_f32_e32 v2, v11, v5
	v_fmac_f32_e32 v2, v10, v4
	v_cvt_f64_f32_e32 v[2:3], v2
	v_mul_f64 v[2:3], v[2:3], s[2:3]
	v_cvt_f32_f64_e32 v2, v[2:3]
	v_mul_f32_e32 v3, v11, v4
	v_fma_f32 v3, v10, v5, -v3
	v_cvt_f64_f32_e32 v[4:5], v3
	v_mul_f64 v[4:5], v[4:5], s[2:3]
	v_cvt_f32_f64_e32 v3, v[4:5]
	v_mad_u64_u32 v[0:1], s[6:7], s0, v124, v[0:1]
	v_accvgpr_read_b32 v4, a54
	v_add_u32_e32 v1, s4, v1
	v_accvgpr_read_b32 v5, a55
	global_store_dwordx2 v[0:1], v[2:3], off
	v_mul_f32_e32 v2, v5, v21
	v_fmac_f32_e32 v2, v4, v20
	v_cvt_f64_f32_e32 v[2:3], v2
	v_mul_f64 v[2:3], v[2:3], s[2:3]
	v_cvt_f32_f64_e32 v2, v[2:3]
	v_mul_f32_e32 v3, v5, v20
	v_fma_f32 v3, v4, v21, -v3
	v_cvt_f64_f32_e32 v[4:5], v3
	v_mul_f64 v[4:5], v[4:5], s[2:3]
	v_cvt_f32_f64_e32 v3, v[4:5]
	v_mad_u64_u32 v[0:1], s[6:7], s0, v124, v[0:1]
	v_accvgpr_read_b32 v4, a56
	v_add_u32_e32 v1, s4, v1
	v_accvgpr_read_b32 v5, a57
	global_store_dwordx2 v[0:1], v[2:3], off
	v_mul_f32_e32 v2, v5, v7
	v_fmac_f32_e32 v2, v4, v6
	v_cvt_f64_f32_e32 v[2:3], v2
	v_mul_f64 v[2:3], v[2:3], s[2:3]
	v_cvt_f32_f64_e32 v2, v[2:3]
	v_mul_f32_e32 v3, v5, v6
	v_fma_f32 v3, v4, v7, -v3
	v_cvt_f64_f32_e32 v[4:5], v3
	v_mul_f64 v[4:5], v[4:5], s[2:3]
	v_cvt_f32_f64_e32 v3, v[4:5]
	v_mad_u64_u32 v[0:1], s[6:7], s0, v124, v[0:1]
	v_accvgpr_read_b32 v4, a60
	v_add_u32_e32 v1, s4, v1
	v_accvgpr_read_b32 v5, a61
	global_store_dwordx2 v[0:1], v[2:3], off
	v_mul_f32_e32 v2, v5, v25
	v_fmac_f32_e32 v2, v4, v24
	v_cvt_f64_f32_e32 v[2:3], v2
	v_mul_f64 v[2:3], v[2:3], s[2:3]
	v_cvt_f32_f64_e32 v2, v[2:3]
	v_mul_f32_e32 v3, v5, v24
	v_fma_f32 v3, v4, v25, -v3
	v_cvt_f64_f32_e32 v[4:5], v3
	v_mul_f64 v[4:5], v[4:5], s[2:3]
	v_cvt_f32_f64_e32 v3, v[4:5]
	v_mad_u64_u32 v[0:1], s[6:7], s0, v124, v[0:1]
	v_accvgpr_read_b32 v4, a58
	v_add_u32_e32 v1, s4, v1
	v_accvgpr_read_b32 v5, a59
	global_store_dwordx2 v[0:1], v[2:3], off
	v_mul_f32_e32 v2, v5, v9
	v_fmac_f32_e32 v2, v4, v8
	v_cvt_f64_f32_e32 v[2:3], v2
	v_mul_f64 v[2:3], v[2:3], s[2:3]
	v_cvt_f32_f64_e32 v2, v[2:3]
	v_mul_f32_e32 v3, v5, v8
	v_fma_f32 v3, v4, v9, -v3
	v_cvt_f64_f32_e32 v[4:5], v3
	v_mul_f64 v[4:5], v[4:5], s[2:3]
	v_cvt_f32_f64_e32 v3, v[4:5]
	v_mad_u64_u32 v[0:1], s[6:7], s0, v124, v[0:1]
	v_accvgpr_read_b32 v4, a62
	v_add_u32_e32 v1, s4, v1
	v_accvgpr_read_b32 v5, a63
	global_store_dwordx2 v[0:1], v[2:3], off
	v_mul_f32_e32 v2, v5, v29
	v_fmac_f32_e32 v2, v4, v28
	v_cvt_f64_f32_e32 v[2:3], v2
	v_mul_f64 v[2:3], v[2:3], s[2:3]
	v_cvt_f32_f64_e32 v2, v[2:3]
	v_mul_f32_e32 v3, v5, v28
	v_fma_f32 v3, v4, v29, -v3
	v_cvt_f64_f32_e32 v[4:5], v3
	v_mul_f64 v[4:5], v[4:5], s[2:3]
	v_mad_u64_u32 v[0:1], s[0:1], s0, v124, v[0:1]
	v_cvt_f32_f64_e32 v3, v[4:5]
	v_add_u32_e32 v1, s4, v1
	global_store_dwordx2 v[0:1], v[2:3], off
.LBB0_2:
	s_endpgm
	.section	.rodata,"a",@progbits
	.p2align	6, 0x0
	.amdhsa_kernel bluestein_single_fwd_len3000_dim1_sp_op_CI_CI
		.amdhsa_group_segment_fixed_size 24000
		.amdhsa_private_segment_fixed_size 0
		.amdhsa_kernarg_size 104
		.amdhsa_user_sgpr_count 2
		.amdhsa_user_sgpr_dispatch_ptr 0
		.amdhsa_user_sgpr_queue_ptr 0
		.amdhsa_user_sgpr_kernarg_segment_ptr 1
		.amdhsa_user_sgpr_dispatch_id 0
		.amdhsa_user_sgpr_kernarg_preload_length 0
		.amdhsa_user_sgpr_kernarg_preload_offset 0
		.amdhsa_user_sgpr_private_segment_size 0
		.amdhsa_uses_dynamic_stack 0
		.amdhsa_enable_private_segment 0
		.amdhsa_system_sgpr_workgroup_id_x 1
		.amdhsa_system_sgpr_workgroup_id_y 0
		.amdhsa_system_sgpr_workgroup_id_z 0
		.amdhsa_system_sgpr_workgroup_info 0
		.amdhsa_system_vgpr_workitem_id 0
		.amdhsa_next_free_vgpr 407
		.amdhsa_next_free_sgpr 20
		.amdhsa_accum_offset 256
		.amdhsa_reserve_vcc 1
		.amdhsa_float_round_mode_32 0
		.amdhsa_float_round_mode_16_64 0
		.amdhsa_float_denorm_mode_32 3
		.amdhsa_float_denorm_mode_16_64 3
		.amdhsa_dx10_clamp 1
		.amdhsa_ieee_mode 1
		.amdhsa_fp16_overflow 0
		.amdhsa_tg_split 0
		.amdhsa_exception_fp_ieee_invalid_op 0
		.amdhsa_exception_fp_denorm_src 0
		.amdhsa_exception_fp_ieee_div_zero 0
		.amdhsa_exception_fp_ieee_overflow 0
		.amdhsa_exception_fp_ieee_underflow 0
		.amdhsa_exception_fp_ieee_inexact 0
		.amdhsa_exception_int_div_zero 0
	.end_amdhsa_kernel
	.text
.Lfunc_end0:
	.size	bluestein_single_fwd_len3000_dim1_sp_op_CI_CI, .Lfunc_end0-bluestein_single_fwd_len3000_dim1_sp_op_CI_CI
                                        ; -- End function
	.section	.AMDGPU.csdata,"",@progbits
; Kernel info:
; codeLenInByte = 31796
; NumSgprs: 26
; NumVgprs: 256
; NumAgprs: 151
; TotalNumVgprs: 407
; ScratchSize: 0
; MemoryBound: 0
; FloatMode: 240
; IeeeMode: 1
; LDSByteSize: 24000 bytes/workgroup (compile time only)
; SGPRBlocks: 3
; VGPRBlocks: 50
; NumSGPRsForWavesPerEU: 26
; NumVGPRsForWavesPerEU: 407
; AccumOffset: 256
; Occupancy: 1
; WaveLimiterHint : 1
; COMPUTE_PGM_RSRC2:SCRATCH_EN: 0
; COMPUTE_PGM_RSRC2:USER_SGPR: 2
; COMPUTE_PGM_RSRC2:TRAP_HANDLER: 0
; COMPUTE_PGM_RSRC2:TGID_X_EN: 1
; COMPUTE_PGM_RSRC2:TGID_Y_EN: 0
; COMPUTE_PGM_RSRC2:TGID_Z_EN: 0
; COMPUTE_PGM_RSRC2:TIDIG_COMP_CNT: 0
; COMPUTE_PGM_RSRC3_GFX90A:ACCUM_OFFSET: 63
; COMPUTE_PGM_RSRC3_GFX90A:TG_SPLIT: 0
	.text
	.p2alignl 6, 3212836864
	.fill 256, 4, 3212836864
	.type	__hip_cuid_91a1b21163c42ad7,@object ; @__hip_cuid_91a1b21163c42ad7
	.section	.bss,"aw",@nobits
	.globl	__hip_cuid_91a1b21163c42ad7
__hip_cuid_91a1b21163c42ad7:
	.byte	0                               ; 0x0
	.size	__hip_cuid_91a1b21163c42ad7, 1

	.ident	"AMD clang version 19.0.0git (https://github.com/RadeonOpenCompute/llvm-project roc-6.4.0 25133 c7fe45cf4b819c5991fe208aaa96edf142730f1d)"
	.section	".note.GNU-stack","",@progbits
	.addrsig
	.addrsig_sym __hip_cuid_91a1b21163c42ad7
	.amdgpu_metadata
---
amdhsa.kernels:
  - .agpr_count:     151
    .args:
      - .actual_access:  read_only
        .address_space:  global
        .offset:         0
        .size:           8
        .value_kind:     global_buffer
      - .actual_access:  read_only
        .address_space:  global
        .offset:         8
        .size:           8
        .value_kind:     global_buffer
      - .actual_access:  read_only
        .address_space:  global
        .offset:         16
        .size:           8
        .value_kind:     global_buffer
      - .actual_access:  read_only
        .address_space:  global
        .offset:         24
        .size:           8
        .value_kind:     global_buffer
      - .actual_access:  read_only
        .address_space:  global
        .offset:         32
        .size:           8
        .value_kind:     global_buffer
      - .offset:         40
        .size:           8
        .value_kind:     by_value
      - .address_space:  global
        .offset:         48
        .size:           8
        .value_kind:     global_buffer
      - .address_space:  global
        .offset:         56
        .size:           8
        .value_kind:     global_buffer
      - .address_space:  global
        .offset:         64
        .size:           8
        .value_kind:     global_buffer
      - .address_space:  global
        .offset:         72
        .size:           8
        .value_kind:     global_buffer
      - .offset:         80
        .size:           4
        .value_kind:     by_value
      - .address_space:  global
        .offset:         88
        .size:           8
        .value_kind:     global_buffer
      - .address_space:  global
        .offset:         96
        .size:           8
        .value_kind:     global_buffer
    .group_segment_fixed_size: 24000
    .kernarg_segment_align: 8
    .kernarg_segment_size: 104
    .language:       OpenCL C
    .language_version:
      - 2
      - 0
    .max_flat_workgroup_size: 100
    .name:           bluestein_single_fwd_len3000_dim1_sp_op_CI_CI
    .private_segment_fixed_size: 0
    .sgpr_count:     26
    .sgpr_spill_count: 0
    .symbol:         bluestein_single_fwd_len3000_dim1_sp_op_CI_CI.kd
    .uniform_work_group_size: 1
    .uses_dynamic_stack: false
    .vgpr_count:     407
    .vgpr_spill_count: 0
    .wavefront_size: 64
amdhsa.target:   amdgcn-amd-amdhsa--gfx950
amdhsa.version:
  - 1
  - 2
...

	.end_amdgpu_metadata
